;; amdgpu-corpus repo=vllm-project/vllm kind=compiled arch=gfx90a opt=O3
	.text
	.amdgcn_target "amdgcn-amd-amdhsa--gfx90a"
	.amdhsa_code_object_version 6
	.section	.text._ZN4vllm24merge_attn_states_kernelIfN3c1013Float8_e4m3fnELj128ELb1EEEvPT0_PfPKT_PKfS8_SA_jjjjjjSA_,"axG",@progbits,_ZN4vllm24merge_attn_states_kernelIfN3c1013Float8_e4m3fnELj128ELb1EEEvPT0_PfPKT_PKfS8_SA_jjjjjjSA_,comdat
	.protected	_ZN4vllm24merge_attn_states_kernelIfN3c1013Float8_e4m3fnELj128ELb1EEEvPT0_PfPKT_PKfS8_SA_jjjjjjSA_ ; -- Begin function _ZN4vllm24merge_attn_states_kernelIfN3c1013Float8_e4m3fnELj128ELb1EEEvPT0_PfPKT_PKfS8_SA_jjjjjjSA_
	.globl	_ZN4vllm24merge_attn_states_kernelIfN3c1013Float8_e4m3fnELj128ELb1EEEvPT0_PfPKT_PKfS8_SA_jjjjjjSA_
	.p2align	8
	.type	_ZN4vllm24merge_attn_states_kernelIfN3c1013Float8_e4m3fnELj128ELb1EEEvPT0_PfPKT_PKfS8_SA_jjjjjjSA_,@function
_ZN4vllm24merge_attn_states_kernelIfN3c1013Float8_e4m3fnELj128ELb1EEEvPT0_PfPKT_PKfS8_SA_jjjjjjSA_: ; @_ZN4vllm24merge_attn_states_kernelIfN3c1013Float8_e4m3fnELj128ELb1EEEvPT0_PfPKT_PKfS8_SA_jjjjjjSA_
; %bb.0:
	s_load_dwordx4 s[16:19], s[4:5], 0x30
	v_lshl_add_u32 v0, s6, 7, v0
	s_waitcnt lgkmcnt(0)
	s_lshr_b32 s6, s18, 2
	s_mul_i32 s0, s17, s16
	s_mul_i32 s0, s0, s6
	v_cmp_gt_u32_e32 vcc, s0, v0
	s_and_saveexec_b64 s[0:1], vcc
	s_cbranch_execz .LBB0_187
; %bb.1:
	v_cvt_f32_u32_e32 v1, s6
	s_load_dwordx8 s[8:15], s[4:5], 0x0
	v_cvt_f32_u32_e32 v2, s17
	s_load_dwordx4 s[20:23], s[4:5], 0x40
	s_load_dwordx4 s[0:3], s[4:5], 0x20
	v_rcp_iflag_f32_e32 v1, v1
	s_sub_i32 s4, 0, s6
	v_rcp_iflag_f32_e32 v2, v2
	s_waitcnt lgkmcnt(0)
	v_mov_b32_e32 v9, s9
	v_mul_f32_e32 v1, 0x4f7ffffe, v1
	v_cvt_u32_f32_e32 v1, v1
	v_mul_f32_e32 v2, 0x4f7ffffe, v2
	v_cvt_u32_f32_e32 v2, v2
	v_mul_lo_u32 v3, s4, v1
	v_mul_hi_u32 v3, v1, v3
	v_add_u32_e32 v1, v1, v3
	v_mul_hi_u32 v1, v0, v1
	v_mul_lo_u32 v3, v1, s6
	v_sub_u32_e32 v3, v0, v3
	v_add_u32_e32 v4, 1, v1
	v_cmp_le_u32_e32 vcc, s6, v3
	v_cndmask_b32_e32 v1, v1, v4, vcc
	v_subrev_u32_e32 v4, s6, v3
	v_cndmask_b32_e32 v3, v3, v4, vcc
	v_add_u32_e32 v4, 1, v1
	v_cmp_le_u32_e32 vcc, s6, v3
	v_cndmask_b32_e32 v1, v1, v4, vcc
	v_mul_lo_u32 v3, v1, s6
	s_sub_i32 s4, 0, s17
	v_sub_u32_e32 v8, v0, v3
	v_mul_lo_u32 v0, s4, v2
	v_mul_hi_u32 v0, v2, v0
	v_add_u32_e32 v0, v2, v0
	v_mul_hi_u32 v0, v1, v0
	v_mul_lo_u32 v2, v0, s17
	v_sub_u32_e32 v2, v1, v2
	v_add_u32_e32 v3, 1, v0
	v_cmp_le_u32_e32 vcc, s17, v2
	v_cndmask_b32_e32 v0, v0, v3, vcc
	v_subrev_u32_e32 v3, s17, v2
	v_cndmask_b32_e32 v2, v2, v3, vcc
	v_add_u32_e32 v3, 1, v0
	v_cmp_le_u32_e32 vcc, s17, v2
	s_load_dword s4, s[22:23], 0x0
	v_cndmask_b32_e32 v4, v0, v3, vcc
	v_mul_lo_u32 v0, v4, s17
	v_sub_u32_e32 v5, v1, v0
	v_mul_lo_u32 v0, v1, s19
	v_mul_lo_u32 v7, v1, s20
	v_mov_b32_e32 v1, 0
	v_lshlrev_b64 v[0:1], 2, v[0:1]
	v_mov_b32_e32 v3, s1
	v_add_co_u32_e32 v2, vcc, s0, v0
	s_waitcnt lgkmcnt(0)
	v_div_scale_f32 v10, s[0:1], s4, s4, 1.0
	v_rcp_f32_e32 v11, v10
	v_addc_co_u32_e32 v3, vcc, v3, v1, vcc
	v_add_co_u32_e32 v16, vcc, s8, v7
	v_addc_co_u32_e32 v17, vcc, 0, v9, vcc
	v_fma_f32 v7, -v10, v11, 1.0
	v_fmac_f32_e32 v11, v7, v11
	v_div_scale_f32 v7, vcc, 1.0, s4, 1.0
	v_mul_f32_e32 v9, v7, v11
	v_fma_f32 v12, -v10, v9, v7
	v_fmac_f32_e32 v9, v12, v11
	v_fma_f32 v7, -v10, v9, v7
	v_div_fmas_f32 v7, v7, v11, v9
	v_lshlrev_b32_e32 v6, 2, v8
	v_div_fixup_f32 v18, v7, s4, 1.0
	v_cmp_le_u32_e32 vcc, s21, v4
	s_and_saveexec_b64 s[0:1], vcc
	s_xor_b64 s[4:5], exec, s[0:1]
	s_cbranch_execz .LBB0_63
; %bb.2:
	v_cmp_gt_u32_e32 vcc, s18, v6
	s_and_saveexec_b64 s[6:7], vcc
	s_cbranch_execz .LBB0_60
; %bb.3:
	v_mov_b32_e32 v9, 0
	v_lshlrev_b64 v[0:1], 4, v[8:9]
	v_add_co_u32_e32 v0, vcc, v2, v0
	v_addc_co_u32_e32 v1, vcc, v3, v1, vcc
	global_load_dwordx4 v[0:3], v[0:1], off
	s_movk_i32 s8, 0x80
	s_mov_b64 s[0:1], 0x7f800000
	v_mov_b32_e32 v13, v9
	v_mov_b32_e32 v7, v9
	s_waitcnt vmcnt(0)
	v_mul_f32_e32 v0, v18, v0
	v_min_f32_e32 v0, 0x43e00000, v0
	v_max_f32_e32 v11, 0xc3e00000, v0
	v_and_b32_sdwa v0, v11, s8 dst_sel:DWORD dst_unused:UNUSED_PAD src0_sel:BYTE_3 src1_sel:DWORD
	v_and_b32_e32 v12, 0x7f800000, v11
	v_and_b32_e32 v6, 0x7fffff, v11
	v_or_b32_e32 v10, 0x7e, v0
	v_cmp_ne_u64_e32 vcc, s[0:1], v[12:13]
	s_and_saveexec_b64 s[0:1], vcc
	s_xor_b64 s[8:9], exec, s[0:1]
	s_cbranch_execz .LBB0_15
; %bb.4:
	v_and_b32_e32 v12, 0x7fffffff, v11
	v_mov_b32_e32 v13, v9
	s_mov_b64 s[0:1], 0x43e00001
	v_cmp_gt_u64_e32 vcc, s[0:1], v[12:13]
	s_and_saveexec_b64 s[20:21], vcc
	s_cbranch_execz .LBB0_14
; %bb.5:
	v_cmp_ne_u32_e32 vcc, 0, v11
	v_mov_b32_e32 v10, 0
	s_and_saveexec_b64 s[22:23], vcc
	s_cbranch_execz .LBB0_13
; %bb.6:
	v_bfe_u32 v10, v11, 23, 8
	s_movk_i32 s0, 0x79
	v_sub_u32_e64 v11, s0, v10 clamp
	v_mov_b32_e32 v13, 0x78
	v_cmp_eq_u32_e32 vcc, 0, v10
	v_cndmask_b32_e32 v15, v11, v13, vcc
	v_add_u32_e32 v14, 0xffffff88, v10
	v_add_u32_e32 v10, 20, v15
	v_or_b32_e32 v12, 0x800000, v6
	v_lshlrev_b64 v[10:11], v10, -1
	v_cndmask_b32_e32 v6, v12, v6, vcc
	v_not_b32_e32 v11, v11
	v_not_b32_e32 v10, v10
	v_add_u32_e32 v12, 19, v15
	v_and_b32_e32 v11, 0, v11
	v_and_b32_e32 v10, v6, v10
	v_lshlrev_b64 v[12:13], v12, 1
	v_cmp_eq_u64_e64 s[0:1], v[10:11], v[12:13]
	v_lshrrev_b64 v[6:7], v15, v[6:7]
	v_mov_b32_e32 v10, 0xffffff89
	v_cndmask_b32_e32 v10, v14, v10, vcc
	v_lshrrev_b32_e32 v11, 23, v6
	v_add3_u32 v12, v10, v15, v11
	v_and_b32_e32 v10, 0x100000, v6
	v_mov_b32_e32 v11, 0
	v_cmp_eq_u64_e32 vcc, 0, v[10:11]
	s_and_b64 vcc, vcc, s[0:1]
	v_subbrev_co_u32_e32 v10, vcc, 0, v6, vcc
	v_and_b32_e32 v10, 0xfffff, v10
	v_add_co_u32_e32 v6, vcc, v10, v6
	v_add_u32_e32 v13, -1, v12
	v_addc_co_u32_e32 v7, vcc, 0, v7, vcc
	v_cmp_ne_u32_e32 vcc, 0, v13
                                        ; implicit-def: $vgpr10
	s_and_saveexec_b64 s[0:1], vcc
	s_xor_b64 s[0:1], exec, s[0:1]
; %bb.7:
	v_and_b32_e32 v10, 0x1000000, v6
	v_cmp_eq_u64_e32 vcc, 0, v[10:11]
	v_bfe_u32 v11, v6, 24, 1
	v_cndmask_b32_e32 v10, v12, v13, vcc
	v_lshrrev_b64 v[6:7], v11, v[6:7]
; %bb.8:
	s_andn2_saveexec_b64 s[0:1], s[0:1]
; %bb.9:
	v_bfe_u32 v10, v6, 23, 1
; %bb.10:
	s_or_b64 exec, exec, s[0:1]
	v_lshrrev_b64 v[6:7], 20, v[6:7]
	v_cmp_gt_i32_e32 vcc, 16, v10
	v_cndmask_b32_e32 v7, 0, v7, vcc
	v_cndmask_b32_e32 v6, 7, v6, vcc
	v_cmp_ne_u32_e32 vcc, 0, v10
	v_cmp_ne_u64_e64 s[0:1], 0, v[6:7]
	s_or_b64 s[24:25], vcc, s[0:1]
	s_and_saveexec_b64 s[0:1], s[24:25]
; %bb.11:
	v_min_i32_e32 v7, 15, v10
	v_lshlrev_b32_e32 v7, 3, v7
	v_and_b32_e32 v6, 7, v6
	v_and_b32_e32 v7, 0xf8, v7
	v_or3_b32 v0, v7, v6, v0
; %bb.12:
	s_or_b64 exec, exec, s[0:1]
	v_mov_b32_e32 v10, v0
.LBB0_13:
	s_or_b64 exec, exec, s[22:23]
.LBB0_14:
	s_or_b64 exec, exec, s[20:21]
                                        ; implicit-def: $vgpr11
                                        ; implicit-def: $vgpr6_vgpr7
.LBB0_15:
	s_andn2_saveexec_b64 s[0:1], s[8:9]
; %bb.16:
	s_movk_i32 s8, 0x7f
	v_or_b32_sdwa v0, v11, s8 dst_sel:DWORD dst_unused:UNUSED_PAD src0_sel:BYTE_3 src1_sel:DWORD
	v_cmp_eq_u64_e32 vcc, 0, v[6:7]
	v_cndmask_b32_e32 v10, v0, v10, vcc
; %bb.17:
	s_or_b64 exec, exec, s[0:1]
	v_mul_f32_e32 v0, v18, v1
	v_min_f32_e32 v0, 0x43e00000, v0
	v_max_f32_e32 v6, 0xc3e00000, v0
	v_mov_b32_e32 v1, 0
	s_movk_i32 s0, 0x80
	v_and_b32_sdwa v12, v6, s0 dst_sel:DWORD dst_unused:UNUSED_PAD src0_sel:BYTE_3 src1_sel:DWORD
	v_and_b32_e32 v14, 0x7f800000, v6
	v_mov_b32_e32 v15, v1
	s_mov_b64 s[0:1], 0x7f800000
	v_and_b32_e32 v0, 0x7fffff, v6
	v_or_b32_e32 v11, 0x7e, v12
	v_cmp_ne_u64_e32 vcc, s[0:1], v[14:15]
	s_and_saveexec_b64 s[0:1], vcc
	s_xor_b64 s[8:9], exec, s[0:1]
	s_cbranch_execz .LBB0_29
; %bb.18:
	v_and_b32_e32 v14, 0x7fffffff, v6
	v_mov_b32_e32 v15, v1
	s_mov_b64 s[0:1], 0x43e00001
	v_cmp_gt_u64_e32 vcc, s[0:1], v[14:15]
	s_and_saveexec_b64 s[20:21], vcc
	s_cbranch_execz .LBB0_28
; %bb.19:
	v_cmp_ne_u32_e32 vcc, 0, v6
	v_mov_b32_e32 v11, 0
	s_and_saveexec_b64 s[22:23], vcc
	s_cbranch_execz .LBB0_27
; %bb.20:
	v_bfe_u32 v6, v6, 23, 8
	s_movk_i32 s0, 0x79
	v_sub_u32_e64 v7, s0, v6 clamp
	v_mov_b32_e32 v14, 0x78
	v_cmp_eq_u32_e32 vcc, 0, v6
	v_cndmask_b32_e32 v19, v7, v14, vcc
	v_add_u32_e32 v13, 0xffffff88, v6
	v_add_u32_e32 v6, 20, v19
	v_or_b32_e32 v11, 0x800000, v0
	v_lshlrev_b64 v[6:7], v6, -1
	v_cndmask_b32_e32 v0, v11, v0, vcc
	v_not_b32_e32 v7, v7
	v_not_b32_e32 v6, v6
	v_add_u32_e32 v11, 19, v19
	v_and_b32_e32 v7, 0, v7
	v_and_b32_e32 v6, v0, v6
	v_lshlrev_b64 v[14:15], v11, 1
	v_cmp_eq_u64_e64 s[0:1], v[6:7], v[14:15]
	v_lshrrev_b64 v[0:1], v19, v[0:1]
	v_mov_b32_e32 v6, 0xffffff89
	v_cndmask_b32_e32 v6, v13, v6, vcc
	v_lshrrev_b32_e32 v7, 23, v0
	v_add3_u32 v11, v6, v19, v7
	v_and_b32_e32 v6, 0x100000, v0
	v_mov_b32_e32 v7, 0
	v_cmp_eq_u64_e32 vcc, 0, v[6:7]
	s_and_b64 vcc, vcc, s[0:1]
	v_subbrev_co_u32_e32 v6, vcc, 0, v0, vcc
	v_and_b32_e32 v6, 0xfffff, v6
	v_add_co_u32_e32 v0, vcc, v6, v0
	v_add_u32_e32 v13, -1, v11
	v_addc_co_u32_e32 v1, vcc, 0, v1, vcc
	v_cmp_ne_u32_e32 vcc, 0, v13
                                        ; implicit-def: $vgpr6
	s_and_saveexec_b64 s[0:1], vcc
	s_xor_b64 s[0:1], exec, s[0:1]
; %bb.21:
	v_and_b32_e32 v6, 0x1000000, v0
	v_cmp_eq_u64_e32 vcc, 0, v[6:7]
	v_bfe_u32 v7, v0, 24, 1
	v_cndmask_b32_e32 v6, v11, v13, vcc
	v_lshrrev_b64 v[0:1], v7, v[0:1]
; %bb.22:
	s_andn2_saveexec_b64 s[0:1], s[0:1]
; %bb.23:
	v_bfe_u32 v6, v0, 23, 1
; %bb.24:
	s_or_b64 exec, exec, s[0:1]
	v_lshrrev_b64 v[0:1], 20, v[0:1]
	v_cmp_gt_i32_e32 vcc, 16, v6
	v_cndmask_b32_e32 v1, 0, v1, vcc
	v_cndmask_b32_e32 v0, 7, v0, vcc
	v_cmp_ne_u32_e32 vcc, 0, v6
	v_cmp_ne_u64_e64 s[0:1], 0, v[0:1]
	s_or_b64 s[24:25], vcc, s[0:1]
	s_and_saveexec_b64 s[0:1], s[24:25]
; %bb.25:
	v_min_i32_e32 v1, 15, v6
	v_lshlrev_b32_e32 v1, 3, v1
	v_and_b32_e32 v0, 7, v0
	v_and_b32_e32 v1, 0xf8, v1
	v_or3_b32 v12, v1, v0, v12
; %bb.26:
	s_or_b64 exec, exec, s[0:1]
	v_mov_b32_e32 v11, v12
.LBB0_27:
	s_or_b64 exec, exec, s[22:23]
.LBB0_28:
	s_or_b64 exec, exec, s[20:21]
                                        ; implicit-def: $vgpr6
                                        ; implicit-def: $vgpr0_vgpr1
.LBB0_29:
	s_andn2_saveexec_b64 s[0:1], s[8:9]
; %bb.30:
	s_movk_i32 s8, 0x7f
	v_or_b32_sdwa v6, v6, s8 dst_sel:DWORD dst_unused:UNUSED_PAD src0_sel:BYTE_3 src1_sel:DWORD
	v_cmp_eq_u64_e32 vcc, 0, v[0:1]
	v_cndmask_b32_e32 v11, v6, v11, vcc
; %bb.31:
	s_or_b64 exec, exec, s[0:1]
	v_mul_f32_e32 v0, v18, v2
	v_min_f32_e32 v0, 0x43e00000, v0
	v_max_f32_e32 v7, 0xc3e00000, v0
	v_mov_b32_e32 v1, 0
	s_movk_i32 s0, 0x80
	v_and_b32_sdwa v2, v7, s0 dst_sel:DWORD dst_unused:UNUSED_PAD src0_sel:BYTE_3 src1_sel:DWORD
	v_and_b32_e32 v12, 0x7f800000, v7
	v_mov_b32_e32 v13, v1
	s_mov_b64 s[0:1], 0x7f800000
	v_and_b32_e32 v0, 0x7fffff, v7
	v_or_b32_e32 v6, 0x7e, v2
	v_cmp_ne_u64_e32 vcc, s[0:1], v[12:13]
	s_and_saveexec_b64 s[0:1], vcc
	s_xor_b64 s[8:9], exec, s[0:1]
	s_cbranch_execz .LBB0_43
; %bb.32:
	v_and_b32_e32 v12, 0x7fffffff, v7
	v_mov_b32_e32 v13, v1
	s_mov_b64 s[0:1], 0x43e00001
	v_cmp_gt_u64_e32 vcc, s[0:1], v[12:13]
	s_and_saveexec_b64 s[20:21], vcc
	s_cbranch_execz .LBB0_42
; %bb.33:
	v_cmp_ne_u32_e32 vcc, 0, v7
	v_mov_b32_e32 v6, 0
	s_and_saveexec_b64 s[22:23], vcc
	s_cbranch_execz .LBB0_41
; %bb.34:
	v_bfe_u32 v6, v7, 23, 8
	s_movk_i32 s0, 0x79
	v_sub_u32_e64 v7, s0, v6 clamp
	v_mov_b32_e32 v13, 0x78
	v_cmp_eq_u32_e32 vcc, 0, v6
	v_cndmask_b32_e32 v15, v7, v13, vcc
	v_add_u32_e32 v14, 0xffffff88, v6
	v_add_u32_e32 v6, 20, v15
	v_or_b32_e32 v12, 0x800000, v0
	v_lshlrev_b64 v[6:7], v6, -1
	v_cndmask_b32_e32 v0, v12, v0, vcc
	v_not_b32_e32 v7, v7
	v_not_b32_e32 v6, v6
	v_add_u32_e32 v12, 19, v15
	v_and_b32_e32 v7, 0, v7
	v_and_b32_e32 v6, v0, v6
	v_lshlrev_b64 v[12:13], v12, 1
	v_cmp_eq_u64_e64 s[0:1], v[6:7], v[12:13]
	v_lshrrev_b64 v[0:1], v15, v[0:1]
	v_mov_b32_e32 v6, 0xffffff89
	v_cndmask_b32_e32 v6, v14, v6, vcc
	v_lshrrev_b32_e32 v7, 23, v0
	v_add3_u32 v12, v6, v15, v7
	v_and_b32_e32 v6, 0x100000, v0
	v_mov_b32_e32 v7, 0
	v_cmp_eq_u64_e32 vcc, 0, v[6:7]
	s_and_b64 vcc, vcc, s[0:1]
	v_subbrev_co_u32_e32 v6, vcc, 0, v0, vcc
	v_and_b32_e32 v6, 0xfffff, v6
	v_add_co_u32_e32 v0, vcc, v6, v0
	v_add_u32_e32 v13, -1, v12
	v_addc_co_u32_e32 v1, vcc, 0, v1, vcc
	v_cmp_ne_u32_e32 vcc, 0, v13
                                        ; implicit-def: $vgpr6
	s_and_saveexec_b64 s[0:1], vcc
	s_xor_b64 s[0:1], exec, s[0:1]
; %bb.35:
	v_and_b32_e32 v6, 0x1000000, v0
	v_cmp_eq_u64_e32 vcc, 0, v[6:7]
	v_bfe_u32 v7, v0, 24, 1
	v_cndmask_b32_e32 v6, v12, v13, vcc
	v_lshrrev_b64 v[0:1], v7, v[0:1]
; %bb.36:
	s_andn2_saveexec_b64 s[0:1], s[0:1]
; %bb.37:
	v_bfe_u32 v6, v0, 23, 1
; %bb.38:
	s_or_b64 exec, exec, s[0:1]
	v_lshrrev_b64 v[0:1], 20, v[0:1]
	v_cmp_gt_i32_e32 vcc, 16, v6
	v_cndmask_b32_e32 v1, 0, v1, vcc
	v_cndmask_b32_e32 v0, 7, v0, vcc
	v_cmp_ne_u32_e32 vcc, 0, v6
	v_cmp_ne_u64_e64 s[0:1], 0, v[0:1]
	s_or_b64 s[24:25], vcc, s[0:1]
	s_and_saveexec_b64 s[0:1], s[24:25]
; %bb.39:
	v_min_i32_e32 v1, 15, v6
	v_lshlrev_b32_e32 v1, 3, v1
	v_and_b32_e32 v0, 7, v0
	v_and_b32_e32 v1, 0xf8, v1
	v_or3_b32 v2, v1, v0, v2
; %bb.40:
	s_or_b64 exec, exec, s[0:1]
	v_mov_b32_e32 v6, v2
.LBB0_41:
	s_or_b64 exec, exec, s[22:23]
.LBB0_42:
	s_or_b64 exec, exec, s[20:21]
                                        ; implicit-def: $vgpr7
                                        ; implicit-def: $vgpr0_vgpr1
.LBB0_43:
	s_andn2_saveexec_b64 s[0:1], s[8:9]
; %bb.44:
	s_movk_i32 s8, 0x7f
	v_or_b32_sdwa v2, v7, s8 dst_sel:DWORD dst_unused:UNUSED_PAD src0_sel:BYTE_3 src1_sel:DWORD
	v_cmp_eq_u64_e32 vcc, 0, v[0:1]
	v_cndmask_b32_e32 v6, v2, v6, vcc
; %bb.45:
	s_or_b64 exec, exec, s[0:1]
	v_mul_f32_e32 v0, v18, v3
	v_min_f32_e32 v0, 0x43e00000, v0
	v_max_f32_e32 v3, 0xc3e00000, v0
	v_mov_b32_e32 v1, 0
	s_movk_i32 s0, 0x80
	v_and_b32_sdwa v7, v3, s0 dst_sel:DWORD dst_unused:UNUSED_PAD src0_sel:BYTE_3 src1_sel:DWORD
	v_and_b32_e32 v12, 0x7f800000, v3
	v_mov_b32_e32 v13, v1
	s_mov_b64 s[0:1], 0x7f800000
	v_and_b32_e32 v0, 0x7fffff, v3
	v_or_b32_e32 v2, 0x7e, v7
	v_cmp_ne_u64_e32 vcc, s[0:1], v[12:13]
	s_and_saveexec_b64 s[0:1], vcc
	s_xor_b64 s[8:9], exec, s[0:1]
	s_cbranch_execz .LBB0_57
; %bb.46:
	v_and_b32_e32 v12, 0x7fffffff, v3
	v_mov_b32_e32 v13, v1
	s_mov_b64 s[0:1], 0x43e00001
	v_cmp_gt_u64_e32 vcc, s[0:1], v[12:13]
	s_and_saveexec_b64 s[20:21], vcc
	s_cbranch_execz .LBB0_56
; %bb.47:
	v_cmp_ne_u32_e32 vcc, 0, v3
	v_mov_b32_e32 v2, 0
	s_and_saveexec_b64 s[22:23], vcc
	s_cbranch_execz .LBB0_55
; %bb.48:
	v_bfe_u32 v2, v3, 23, 8
	s_movk_i32 s0, 0x79
	v_sub_u32_e64 v3, s0, v2 clamp
	v_mov_b32_e32 v13, 0x78
	v_cmp_eq_u32_e32 vcc, 0, v2
	v_cndmask_b32_e32 v15, v3, v13, vcc
	v_add_u32_e32 v14, 0xffffff88, v2
	v_add_u32_e32 v2, 20, v15
	v_or_b32_e32 v12, 0x800000, v0
	v_lshlrev_b64 v[2:3], v2, -1
	v_cndmask_b32_e32 v0, v12, v0, vcc
	v_not_b32_e32 v3, v3
	v_not_b32_e32 v2, v2
	v_add_u32_e32 v12, 19, v15
	v_and_b32_e32 v3, 0, v3
	v_and_b32_e32 v2, v0, v2
	v_lshlrev_b64 v[12:13], v12, 1
	v_cmp_eq_u64_e64 s[0:1], v[2:3], v[12:13]
	v_lshrrev_b64 v[0:1], v15, v[0:1]
	v_mov_b32_e32 v2, 0xffffff89
	v_cndmask_b32_e32 v2, v14, v2, vcc
	v_lshrrev_b32_e32 v3, 23, v0
	v_add3_u32 v12, v2, v15, v3
	v_and_b32_e32 v2, 0x100000, v0
	v_mov_b32_e32 v3, 0
	v_cmp_eq_u64_e32 vcc, 0, v[2:3]
	s_and_b64 vcc, vcc, s[0:1]
	v_subbrev_co_u32_e32 v2, vcc, 0, v0, vcc
	v_and_b32_e32 v2, 0xfffff, v2
	v_add_co_u32_e32 v0, vcc, v2, v0
	v_add_u32_e32 v13, -1, v12
	v_addc_co_u32_e32 v1, vcc, 0, v1, vcc
	v_cmp_ne_u32_e32 vcc, 0, v13
                                        ; implicit-def: $vgpr2
	s_and_saveexec_b64 s[0:1], vcc
	s_xor_b64 s[0:1], exec, s[0:1]
; %bb.49:
	v_and_b32_e32 v2, 0x1000000, v0
	v_cmp_eq_u64_e32 vcc, 0, v[2:3]
	v_bfe_u32 v3, v0, 24, 1
	v_cndmask_b32_e32 v2, v12, v13, vcc
	v_lshrrev_b64 v[0:1], v3, v[0:1]
; %bb.50:
	s_andn2_saveexec_b64 s[0:1], s[0:1]
; %bb.51:
	v_bfe_u32 v2, v0, 23, 1
; %bb.52:
	s_or_b64 exec, exec, s[0:1]
	v_lshrrev_b64 v[0:1], 20, v[0:1]
	v_cmp_gt_i32_e32 vcc, 16, v2
	v_cndmask_b32_e32 v1, 0, v1, vcc
	v_cndmask_b32_e32 v0, 7, v0, vcc
	v_cmp_ne_u32_e32 vcc, 0, v2
	v_cmp_ne_u64_e64 s[0:1], 0, v[0:1]
	s_or_b64 s[24:25], vcc, s[0:1]
	s_and_saveexec_b64 s[0:1], s[24:25]
; %bb.53:
	v_min_i32_e32 v1, 15, v2
	v_lshlrev_b32_e32 v1, 3, v1
	v_and_b32_e32 v0, 7, v0
	v_and_b32_e32 v1, 0xf8, v1
	v_or3_b32 v7, v1, v0, v7
; %bb.54:
	s_or_b64 exec, exec, s[0:1]
	v_mov_b32_e32 v2, v7
.LBB0_55:
	s_or_b64 exec, exec, s[22:23]
.LBB0_56:
	s_or_b64 exec, exec, s[20:21]
                                        ; implicit-def: $vgpr3
                                        ; implicit-def: $vgpr0_vgpr1
.LBB0_57:
	s_andn2_saveexec_b64 s[0:1], s[8:9]
; %bb.58:
	s_movk_i32 s8, 0x7f
	v_or_b32_sdwa v3, v3, s8 dst_sel:DWORD dst_unused:UNUSED_PAD src0_sel:BYTE_3 src1_sel:DWORD
	v_cmp_eq_u64_e32 vcc, 0, v[0:1]
	v_cndmask_b32_e32 v2, v3, v2, vcc
; %bb.59:
	s_or_b64 exec, exec, s[0:1]
	v_lshlrev_b32_e32 v0, 16, v6
	v_lshl_or_b32 v0, v2, 24, v0
	v_lshlrev_b32_e32 v1, 8, v11
	v_or3_b32 v2, v0, v1, v10
	v_lshlrev_b64 v[0:1], 2, v[8:9]
	v_add_co_u32_e32 v0, vcc, v16, v0
	v_addc_co_u32_e32 v1, vcc, v17, v1, vcc
	global_store_dword v[0:1], v2, off
.LBB0_60:
	s_or_b64 exec, exec, s[6:7]
	s_cmp_lg_u64 s[10:11], 0
	s_cselect_b64 s[0:1], -1, 0
	v_cmp_eq_u32_e32 vcc, 0, v8
	s_and_b64 s[6:7], s[0:1], vcc
	s_and_saveexec_b64 s[0:1], s[6:7]
	s_cbranch_execz .LBB0_62
; %bb.61:
	v_mad_u64_u32 v[0:1], s[6:7], v5, s16, v[4:5]
	v_mov_b32_e32 v1, 0
	v_lshlrev_b64 v[0:1], 2, v[0:1]
	v_mov_b32_e32 v3, s3
	v_add_co_u32_e32 v2, vcc, s2, v0
	v_addc_co_u32_e32 v3, vcc, v3, v1, vcc
	global_load_dword v2, v[2:3], off
	v_mov_b32_e32 v3, s11
	v_add_co_u32_e32 v0, vcc, s10, v0
	v_addc_co_u32_e32 v1, vcc, v3, v1, vcc
	s_waitcnt vmcnt(0)
	global_store_dword v[0:1], v2, off
.LBB0_62:
	s_or_b64 exec, exec, s[0:1]
                                        ; implicit-def: $vgpr8
                                        ; implicit-def: $vgpr4
                                        ; implicit-def: $vgpr5
                                        ; implicit-def: $vgpr6
                                        ; implicit-def: $vgpr0_vgpr1
                                        ; implicit-def: $vgpr18
                                        ; implicit-def: $vgpr2
                                        ; implicit-def: $vgpr3
                                        ; implicit-def: $vgpr16
                                        ; implicit-def: $vgpr17
.LBB0_63:
	s_andn2_saveexec_b64 s[0:1], s[4:5]
	s_cbranch_execz .LBB0_187
; %bb.64:
	v_mad_u64_u32 v[4:5], s[0:1], v5, s16, v[4:5]
	v_mov_b32_e32 v5, 0
	v_lshlrev_b64 v[10:11], 2, v[4:5]
	v_mov_b32_e32 v5, s15
	v_add_co_u32_e32 v4, vcc, s14, v10
	v_addc_co_u32_e32 v5, vcc, v5, v11, vcc
	global_load_dword v7, v[4:5], off
	v_mov_b32_e32 v5, s3
	v_add_co_u32_e32 v4, vcc, s2, v10
	v_addc_co_u32_e32 v5, vcc, v5, v11, vcc
	global_load_dword v4, v[4:5], off
	v_mov_b32_e32 v5, s13
	v_add_co_u32_e32 v0, vcc, s12, v0
	s_mov_b32 s0, 0x7f800000
	v_addc_co_u32_e32 v1, vcc, v5, v1, vcc
	v_mov_b32_e32 v9, 0xff800000
	s_waitcnt vmcnt(1)
	v_cmp_neq_f32_e64 vcc, |v7|, s0
	v_cndmask_b32_e32 v5, v9, v7, vcc
	v_max_f32_e32 v7, v5, v5
	s_waitcnt vmcnt(0)
	v_cmp_neq_f32_e64 vcc, |v4|, s0
	v_cndmask_b32_e32 v4, v9, v4, vcc
	v_max_f32_e32 v9, v4, v4
	v_max_f32_e32 v19, v7, v9
	v_cmp_neq_f32_e64 s[0:1], |v19|, s0
	s_and_saveexec_b64 s[2:3], s[0:1]
	s_xor_b64 s[2:3], exec, s[2:3]
	s_cbranch_execz .LBB0_126
; %bb.65:
	v_sub_f32_e32 v5, v5, v19
	s_mov_b32 s0, 0x3fb8aa3b
	v_mul_f32_e32 v7, 0x3fb8aa3b, v5
	v_fma_f32 v9, v5, s0, -v7
	v_rndne_f32_e32 v12, v7
	v_fmac_f32_e32 v9, 0x32a5705f, v5
	v_sub_f32_e32 v7, v7, v12
	v_add_f32_e32 v7, v7, v9
	v_exp_f32_e32 v7, v7
	v_cvt_i32_f32_e32 v9, v12
	v_sub_f32_e32 v4, v4, v19
	s_mov_b32 s1, 0xc2ce8ed0
	v_cmp_ngt_f32_e32 vcc, s1, v5
	v_ldexp_f32 v7, v7, v9
	v_mul_f32_e32 v9, 0x3fb8aa3b, v4
	v_fma_f32 v12, v4, s0, -v9
	v_rndne_f32_e32 v13, v9
	v_fmac_f32_e32 v12, 0x32a5705f, v4
	v_sub_f32_e32 v9, v9, v13
	v_add_f32_e32 v9, v9, v12
	v_exp_f32_e32 v9, v9
	v_cvt_i32_f32_e32 v13, v13
	s_mov_b32 s4, 0x42b17218
	v_cndmask_b32_e32 v7, 0, v7, vcc
	v_mov_b32_e32 v14, 0x7f800000
	v_cmp_nlt_f32_e32 vcc, s4, v5
	v_cndmask_b32_e32 v12, v14, v7, vcc
	v_ldexp_f32 v5, v9, v13
	v_cmp_ngt_f32_e32 vcc, s1, v4
	v_cndmask_b32_e32 v5, 0, v5, vcc
	v_cmp_nlt_f32_e32 vcc, s4, v4
	v_cndmask_b32_e32 v14, v14, v5, vcc
	v_add_f32_e32 v20, v12, v14
	v_cmp_gt_u32_e32 vcc, s18, v6
	s_and_saveexec_b64 s[4:5], vcc
	s_cbranch_execz .LBB0_123
; %bb.66:
	v_mov_b32_e32 v9, 0
	v_lshlrev_b64 v[4:5], 4, v[8:9]
	v_add_co_u32_e32 v22, vcc, v0, v4
	v_addc_co_u32_e32 v23, vcc, v1, v5, vcc
	v_add_co_u32_e32 v24, vcc, v2, v4
	v_addc_co_u32_e32 v25, vcc, v3, v5, vcc
	global_load_dwordx4 v[4:7], v[24:25], off
	global_load_dwordx4 v[0:3], v[22:23], off
	v_div_scale_f32 v15, s[0:1], v20, v20, v14
	v_div_scale_f32 v22, s[0:1], v20, v20, v12
	v_rcp_f32_e32 v24, v15
	v_rcp_f32_e32 v26, v22
	v_div_scale_f32 v21, vcc, v14, v20, v14
	v_fma_f32 v27, -v15, v24, 1.0
	v_fma_f32 v28, -v22, v26, 1.0
	v_fmac_f32_e32 v24, v27, v24
	v_div_scale_f32 v23, s[0:1], v12, v20, v12
	v_fmac_f32_e32 v26, v28, v26
	v_mul_f32_e32 v27, v21, v24
	v_mul_f32_e32 v28, v23, v26
	v_fma_f32 v29, -v15, v27, v21
	v_fma_f32 v30, -v22, v28, v23
	v_fmac_f32_e32 v27, v29, v24
	v_fmac_f32_e32 v28, v30, v26
	v_fma_f32 v15, -v15, v27, v21
	v_fma_f32 v22, -v22, v28, v23
	v_div_fmas_f32 v15, v15, v24, v27
	s_mov_b64 vcc, s[0:1]
	v_div_fixup_f32 v21, v15, v20, v14
	v_div_fmas_f32 v14, v22, v26, v28
	v_div_fixup_f32 v22, v14, v20, v12
	s_movk_i32 s8, 0x80
	s_mov_b64 s[6:7], 0x7f800000
	v_mov_b32_e32 v25, v9
	v_mov_b32_e32 v13, v9
	s_waitcnt vmcnt(1)
	v_mul_f32_e32 v4, v21, v4
	s_waitcnt vmcnt(0)
	v_fmac_f32_e32 v4, v22, v0
	v_mul_f32_e32 v0, v18, v4
	v_min_f32_e32 v0, 0x43e00000, v0
	v_max_f32_e32 v4, 0xc3e00000, v0
	v_and_b32_sdwa v0, v4, s8 dst_sel:DWORD dst_unused:UNUSED_PAD src0_sel:BYTE_3 src1_sel:DWORD
	v_and_b32_e32 v24, 0x7f800000, v4
	v_and_b32_e32 v12, 0x7fffff, v4
	v_or_b32_e32 v14, 0x7e, v0
	v_cmp_ne_u64_e32 vcc, s[6:7], v[24:25]
	s_and_saveexec_b64 s[0:1], vcc
	s_xor_b64 s[6:7], exec, s[0:1]
	s_cbranch_execz .LBB0_78
; %bb.67:
	v_and_b32_e32 v24, 0x7fffffff, v4
	v_mov_b32_e32 v25, v9
	s_mov_b64 s[0:1], 0x43e00001
	v_cmp_gt_u64_e32 vcc, s[0:1], v[24:25]
	s_and_saveexec_b64 s[8:9], vcc
	s_cbranch_execz .LBB0_77
; %bb.68:
	v_cmp_ne_u32_e32 vcc, 0, v4
	v_mov_b32_e32 v14, 0
	s_and_saveexec_b64 s[12:13], vcc
	s_cbranch_execz .LBB0_76
; %bb.69:
	v_bfe_u32 v4, v4, 23, 8
	s_movk_i32 s0, 0x79
	v_sub_u32_e64 v14, s0, v4 clamp
	v_mov_b32_e32 v24, 0x78
	v_cmp_eq_u32_e32 vcc, 0, v4
	v_add_u32_e32 v23, 0xffffff88, v4
	v_cndmask_b32_e32 v4, v14, v24, vcc
	v_or_b32_e32 v15, 0x800000, v12
	v_add_u32_e32 v14, 20, v4
	v_cndmask_b32_e32 v12, v15, v12, vcc
	v_lshlrev_b64 v[14:15], v14, -1
	v_not_b32_e32 v15, v15
	v_not_b32_e32 v14, v14
	v_add_u32_e32 v24, 19, v4
	v_and_b32_e32 v15, 0, v15
	v_and_b32_e32 v14, v12, v14
	v_lshlrev_b64 v[24:25], v24, 1
	v_cmp_eq_u64_e64 s[0:1], v[14:15], v[24:25]
	v_lshrrev_b64 v[12:13], v4, v[12:13]
	v_mov_b32_e32 v14, 0xffffff89
	v_cndmask_b32_e32 v14, v23, v14, vcc
	v_lshrrev_b32_e32 v15, 23, v12
	v_add3_u32 v23, v14, v4, v15
	v_and_b32_e32 v14, 0x100000, v12
	v_mov_b32_e32 v15, 0
	v_cmp_eq_u64_e32 vcc, 0, v[14:15]
	s_and_b64 vcc, vcc, s[0:1]
	v_subbrev_co_u32_e32 v4, vcc, 0, v12, vcc
	v_and_b32_e32 v4, 0xfffff, v4
	v_add_co_u32_e32 v12, vcc, v4, v12
	v_add_u32_e32 v24, -1, v23
	v_addc_co_u32_e32 v13, vcc, 0, v13, vcc
	v_cmp_ne_u32_e32 vcc, 0, v24
                                        ; implicit-def: $vgpr4
	s_and_saveexec_b64 s[0:1], vcc
	s_xor_b64 s[0:1], exec, s[0:1]
; %bb.70:
	v_and_b32_e32 v14, 0x1000000, v12
	v_cmp_eq_u64_e32 vcc, 0, v[14:15]
	v_bfe_u32 v14, v12, 24, 1
	v_cndmask_b32_e32 v4, v23, v24, vcc
	v_lshrrev_b64 v[12:13], v14, v[12:13]
; %bb.71:
	s_andn2_saveexec_b64 s[0:1], s[0:1]
; %bb.72:
	v_bfe_u32 v4, v12, 23, 1
; %bb.73:
	s_or_b64 exec, exec, s[0:1]
	v_lshrrev_b64 v[12:13], 20, v[12:13]
	v_cmp_gt_i32_e32 vcc, 16, v4
	v_cndmask_b32_e32 v13, 0, v13, vcc
	v_cndmask_b32_e32 v12, 7, v12, vcc
	v_cmp_ne_u32_e32 vcc, 0, v4
	v_cmp_ne_u64_e64 s[0:1], 0, v[12:13]
	s_or_b64 s[14:15], vcc, s[0:1]
	s_and_saveexec_b64 s[0:1], s[14:15]
; %bb.74:
	v_min_i32_e32 v4, 15, v4
	v_lshlrev_b32_e32 v4, 3, v4
	v_and_b32_e32 v12, 7, v12
	v_and_b32_e32 v4, 0xf8, v4
	v_or3_b32 v0, v4, v12, v0
; %bb.75:
	s_or_b64 exec, exec, s[0:1]
	v_mov_b32_e32 v14, v0
.LBB0_76:
	s_or_b64 exec, exec, s[12:13]
.LBB0_77:
	s_or_b64 exec, exec, s[8:9]
                                        ; implicit-def: $vgpr4
                                        ; implicit-def: $vgpr12_vgpr13
.LBB0_78:
	s_andn2_saveexec_b64 s[0:1], s[6:7]
; %bb.79:
	s_movk_i32 s6, 0x7f
	v_or_b32_sdwa v0, v4, s6 dst_sel:DWORD dst_unused:UNUSED_PAD src0_sel:BYTE_3 src1_sel:DWORD
	v_cmp_eq_u64_e32 vcc, 0, v[12:13]
	v_cndmask_b32_e32 v14, v0, v14, vcc
; %bb.80:
	s_or_b64 exec, exec, s[0:1]
	v_mul_f32_e32 v0, v21, v5
	v_fmac_f32_e32 v0, v22, v1
	v_mul_f32_e32 v0, v18, v0
	v_min_f32_e32 v0, 0x43e00000, v0
	v_max_f32_e32 v4, 0xc3e00000, v0
	v_mov_b32_e32 v1, 0
	s_movk_i32 s0, 0x80
	v_and_b32_sdwa v13, v4, s0 dst_sel:DWORD dst_unused:UNUSED_PAD src0_sel:BYTE_3 src1_sel:DWORD
	v_and_b32_e32 v24, 0x7f800000, v4
	v_mov_b32_e32 v25, v1
	s_mov_b64 s[0:1], 0x7f800000
	v_and_b32_e32 v0, 0x7fffff, v4
	v_or_b32_e32 v12, 0x7e, v13
	v_cmp_ne_u64_e32 vcc, s[0:1], v[24:25]
	s_and_saveexec_b64 s[0:1], vcc
	s_xor_b64 s[6:7], exec, s[0:1]
	s_cbranch_execz .LBB0_92
; %bb.81:
	v_and_b32_e32 v24, 0x7fffffff, v4
	v_mov_b32_e32 v25, v1
	s_mov_b64 s[0:1], 0x43e00001
	v_cmp_gt_u64_e32 vcc, s[0:1], v[24:25]
	s_and_saveexec_b64 s[8:9], vcc
	s_cbranch_execz .LBB0_91
; %bb.82:
	v_cmp_ne_u32_e32 vcc, 0, v4
	v_mov_b32_e32 v12, 0
	s_and_saveexec_b64 s[12:13], vcc
	s_cbranch_execz .LBB0_90
; %bb.83:
	v_bfe_u32 v4, v4, 23, 8
	s_movk_i32 s0, 0x79
	v_sub_u32_e64 v5, s0, v4 clamp
	v_mov_b32_e32 v23, 0x78
	v_cmp_eq_u32_e32 vcc, 0, v4
	v_cndmask_b32_e32 v23, v5, v23, vcc
	v_add_u32_e32 v15, 0xffffff88, v4
	v_add_u32_e32 v4, 20, v23
	v_or_b32_e32 v12, 0x800000, v0
	v_lshlrev_b64 v[4:5], v4, -1
	v_cndmask_b32_e32 v0, v12, v0, vcc
	v_not_b32_e32 v5, v5
	v_not_b32_e32 v4, v4
	v_add_u32_e32 v12, 19, v23
	v_and_b32_e32 v5, 0, v5
	v_and_b32_e32 v4, v0, v4
	v_lshlrev_b64 v[24:25], v12, 1
	v_cmp_eq_u64_e64 s[0:1], v[4:5], v[24:25]
	v_lshrrev_b64 v[0:1], v23, v[0:1]
	v_mov_b32_e32 v4, 0xffffff89
	v_cndmask_b32_e32 v4, v15, v4, vcc
	v_lshrrev_b32_e32 v5, 23, v0
	v_add3_u32 v12, v4, v23, v5
	v_and_b32_e32 v4, 0x100000, v0
	v_mov_b32_e32 v5, 0
	v_cmp_eq_u64_e32 vcc, 0, v[4:5]
	s_and_b64 vcc, vcc, s[0:1]
	v_subbrev_co_u32_e32 v4, vcc, 0, v0, vcc
	v_and_b32_e32 v4, 0xfffff, v4
	v_add_co_u32_e32 v0, vcc, v4, v0
	v_add_u32_e32 v15, -1, v12
	v_addc_co_u32_e32 v1, vcc, 0, v1, vcc
	v_cmp_ne_u32_e32 vcc, 0, v15
                                        ; implicit-def: $vgpr4
	s_and_saveexec_b64 s[0:1], vcc
	s_xor_b64 s[0:1], exec, s[0:1]
; %bb.84:
	v_and_b32_e32 v4, 0x1000000, v0
	v_cmp_eq_u64_e32 vcc, 0, v[4:5]
	v_bfe_u32 v5, v0, 24, 1
	v_cndmask_b32_e32 v4, v12, v15, vcc
	v_lshrrev_b64 v[0:1], v5, v[0:1]
; %bb.85:
	s_andn2_saveexec_b64 s[0:1], s[0:1]
; %bb.86:
	v_bfe_u32 v4, v0, 23, 1
; %bb.87:
	s_or_b64 exec, exec, s[0:1]
	v_lshrrev_b64 v[0:1], 20, v[0:1]
	v_cmp_gt_i32_e32 vcc, 16, v4
	v_cndmask_b32_e32 v1, 0, v1, vcc
	v_cndmask_b32_e32 v0, 7, v0, vcc
	v_cmp_ne_u32_e32 vcc, 0, v4
	v_cmp_ne_u64_e64 s[0:1], 0, v[0:1]
	s_or_b64 s[14:15], vcc, s[0:1]
	s_and_saveexec_b64 s[0:1], s[14:15]
; %bb.88:
	v_min_i32_e32 v1, 15, v4
	v_lshlrev_b32_e32 v1, 3, v1
	v_and_b32_e32 v0, 7, v0
	v_and_b32_e32 v1, 0xf8, v1
	v_or3_b32 v13, v1, v0, v13
; %bb.89:
	s_or_b64 exec, exec, s[0:1]
	v_mov_b32_e32 v12, v13
.LBB0_90:
	s_or_b64 exec, exec, s[12:13]
.LBB0_91:
	s_or_b64 exec, exec, s[8:9]
                                        ; implicit-def: $vgpr4
                                        ; implicit-def: $vgpr0_vgpr1
.LBB0_92:
	s_andn2_saveexec_b64 s[0:1], s[6:7]
; %bb.93:
	s_movk_i32 s6, 0x7f
	v_or_b32_sdwa v4, v4, s6 dst_sel:DWORD dst_unused:UNUSED_PAD src0_sel:BYTE_3 src1_sel:DWORD
	v_cmp_eq_u64_e32 vcc, 0, v[0:1]
	v_cndmask_b32_e32 v12, v4, v12, vcc
; %bb.94:
	s_or_b64 exec, exec, s[0:1]
	v_mul_f32_e32 v0, v21, v6
	v_fmac_f32_e32 v0, v22, v2
	v_mul_f32_e32 v0, v18, v0
	v_min_f32_e32 v0, 0x43e00000, v0
	v_max_f32_e32 v5, 0xc3e00000, v0
	v_mov_b32_e32 v1, 0
	s_movk_i32 s0, 0x80
	v_and_b32_sdwa v2, v5, s0 dst_sel:DWORD dst_unused:UNUSED_PAD src0_sel:BYTE_3 src1_sel:DWORD
	v_and_b32_e32 v24, 0x7f800000, v5
	v_mov_b32_e32 v25, v1
	s_mov_b64 s[0:1], 0x7f800000
	v_and_b32_e32 v0, 0x7fffff, v5
	v_or_b32_e32 v4, 0x7e, v2
	v_cmp_ne_u64_e32 vcc, s[0:1], v[24:25]
	s_and_saveexec_b64 s[0:1], vcc
	s_xor_b64 s[6:7], exec, s[0:1]
	s_cbranch_execz .LBB0_106
; %bb.95:
	v_and_b32_e32 v24, 0x7fffffff, v5
	v_mov_b32_e32 v25, v1
	s_mov_b64 s[0:1], 0x43e00001
	v_cmp_gt_u64_e32 vcc, s[0:1], v[24:25]
	s_and_saveexec_b64 s[8:9], vcc
	s_cbranch_execz .LBB0_105
; %bb.96:
	v_cmp_ne_u32_e32 vcc, 0, v5
	v_mov_b32_e32 v4, 0
	s_and_saveexec_b64 s[12:13], vcc
	s_cbranch_execz .LBB0_104
; %bb.97:
	v_bfe_u32 v4, v5, 23, 8
	s_movk_i32 s0, 0x79
	v_sub_u32_e64 v5, s0, v4 clamp
	v_mov_b32_e32 v15, 0x78
	v_cmp_eq_u32_e32 vcc, 0, v4
	v_cndmask_b32_e32 v15, v5, v15, vcc
	v_add_u32_e32 v13, 0xffffff88, v4
	v_add_u32_e32 v4, 20, v15
	v_or_b32_e32 v6, 0x800000, v0
	v_lshlrev_b64 v[4:5], v4, -1
	v_cndmask_b32_e32 v0, v6, v0, vcc
	v_not_b32_e32 v5, v5
	v_not_b32_e32 v4, v4
	v_add_u32_e32 v6, 19, v15
	v_and_b32_e32 v5, 0, v5
	v_and_b32_e32 v4, v0, v4
	v_lshlrev_b64 v[24:25], v6, 1
	v_cmp_eq_u64_e64 s[0:1], v[4:5], v[24:25]
	v_lshrrev_b64 v[0:1], v15, v[0:1]
	v_mov_b32_e32 v4, 0xffffff89
	v_cndmask_b32_e32 v4, v13, v4, vcc
	v_lshrrev_b32_e32 v5, 23, v0
	v_add3_u32 v6, v4, v15, v5
	v_and_b32_e32 v4, 0x100000, v0
	v_mov_b32_e32 v5, 0
	v_cmp_eq_u64_e32 vcc, 0, v[4:5]
	s_and_b64 vcc, vcc, s[0:1]
	v_subbrev_co_u32_e32 v4, vcc, 0, v0, vcc
	v_and_b32_e32 v4, 0xfffff, v4
	v_add_co_u32_e32 v0, vcc, v4, v0
	v_add_u32_e32 v13, -1, v6
	v_addc_co_u32_e32 v1, vcc, 0, v1, vcc
	v_cmp_ne_u32_e32 vcc, 0, v13
                                        ; implicit-def: $vgpr4
	s_and_saveexec_b64 s[0:1], vcc
	s_xor_b64 s[0:1], exec, s[0:1]
; %bb.98:
	v_and_b32_e32 v4, 0x1000000, v0
	v_cmp_eq_u64_e32 vcc, 0, v[4:5]
	v_bfe_u32 v5, v0, 24, 1
	v_cndmask_b32_e32 v4, v6, v13, vcc
	v_lshrrev_b64 v[0:1], v5, v[0:1]
; %bb.99:
	s_andn2_saveexec_b64 s[0:1], s[0:1]
; %bb.100:
	v_bfe_u32 v4, v0, 23, 1
; %bb.101:
	s_or_b64 exec, exec, s[0:1]
	v_lshrrev_b64 v[0:1], 20, v[0:1]
	v_cmp_gt_i32_e32 vcc, 16, v4
	v_cndmask_b32_e32 v1, 0, v1, vcc
	v_cndmask_b32_e32 v0, 7, v0, vcc
	v_cmp_ne_u32_e32 vcc, 0, v4
	v_cmp_ne_u64_e64 s[0:1], 0, v[0:1]
	s_or_b64 s[14:15], vcc, s[0:1]
	s_and_saveexec_b64 s[0:1], s[14:15]
; %bb.102:
	v_min_i32_e32 v1, 15, v4
	v_lshlrev_b32_e32 v1, 3, v1
	v_and_b32_e32 v0, 7, v0
	v_and_b32_e32 v1, 0xf8, v1
	v_or3_b32 v2, v1, v0, v2
; %bb.103:
	s_or_b64 exec, exec, s[0:1]
	v_mov_b32_e32 v4, v2
.LBB0_104:
	s_or_b64 exec, exec, s[12:13]
.LBB0_105:
	s_or_b64 exec, exec, s[8:9]
                                        ; implicit-def: $vgpr5
                                        ; implicit-def: $vgpr0_vgpr1
.LBB0_106:
	s_andn2_saveexec_b64 s[0:1], s[6:7]
; %bb.107:
	s_movk_i32 s6, 0x7f
	v_or_b32_sdwa v2, v5, s6 dst_sel:DWORD dst_unused:UNUSED_PAD src0_sel:BYTE_3 src1_sel:DWORD
	v_cmp_eq_u64_e32 vcc, 0, v[0:1]
	v_cndmask_b32_e32 v4, v2, v4, vcc
; %bb.108:
	s_or_b64 exec, exec, s[0:1]
	v_mul_f32_e32 v0, v21, v7
	v_fmac_f32_e32 v0, v22, v3
	v_mul_f32_e32 v0, v18, v0
	v_min_f32_e32 v0, 0x43e00000, v0
	v_max_f32_e32 v3, 0xc3e00000, v0
	v_mov_b32_e32 v1, 0
	s_movk_i32 s0, 0x80
	v_and_b32_sdwa v5, v3, s0 dst_sel:DWORD dst_unused:UNUSED_PAD src0_sel:BYTE_3 src1_sel:DWORD
	v_and_b32_e32 v6, 0x7f800000, v3
	v_mov_b32_e32 v7, v1
	s_mov_b64 s[0:1], 0x7f800000
	v_and_b32_e32 v0, 0x7fffff, v3
	v_or_b32_e32 v2, 0x7e, v5
	v_cmp_ne_u64_e32 vcc, s[0:1], v[6:7]
	s_and_saveexec_b64 s[0:1], vcc
	s_xor_b64 s[6:7], exec, s[0:1]
	s_cbranch_execz .LBB0_120
; %bb.109:
	v_and_b32_e32 v6, 0x7fffffff, v3
	v_mov_b32_e32 v7, v1
	s_mov_b64 s[0:1], 0x43e00001
	v_cmp_gt_u64_e32 vcc, s[0:1], v[6:7]
	s_and_saveexec_b64 s[8:9], vcc
	s_cbranch_execz .LBB0_119
; %bb.110:
	v_cmp_ne_u32_e32 vcc, 0, v3
	v_mov_b32_e32 v2, 0
	s_and_saveexec_b64 s[12:13], vcc
	s_cbranch_execz .LBB0_118
; %bb.111:
	v_bfe_u32 v2, v3, 23, 8
	s_movk_i32 s0, 0x79
	v_sub_u32_e64 v3, s0, v2 clamp
	v_mov_b32_e32 v7, 0x78
	v_cmp_eq_u32_e32 vcc, 0, v2
	v_cndmask_b32_e32 v15, v3, v7, vcc
	v_add_u32_e32 v13, 0xffffff88, v2
	v_add_u32_e32 v2, 20, v15
	v_or_b32_e32 v6, 0x800000, v0
	v_lshlrev_b64 v[2:3], v2, -1
	v_cndmask_b32_e32 v0, v6, v0, vcc
	v_not_b32_e32 v3, v3
	v_not_b32_e32 v2, v2
	v_add_u32_e32 v6, 19, v15
	v_and_b32_e32 v3, 0, v3
	v_and_b32_e32 v2, v0, v2
	v_lshlrev_b64 v[6:7], v6, 1
	v_cmp_eq_u64_e64 s[0:1], v[2:3], v[6:7]
	v_lshrrev_b64 v[0:1], v15, v[0:1]
	v_mov_b32_e32 v2, 0xffffff89
	v_cndmask_b32_e32 v2, v13, v2, vcc
	v_lshrrev_b32_e32 v3, 23, v0
	v_add3_u32 v6, v2, v15, v3
	v_and_b32_e32 v2, 0x100000, v0
	v_mov_b32_e32 v3, 0
	v_cmp_eq_u64_e32 vcc, 0, v[2:3]
	s_and_b64 vcc, vcc, s[0:1]
	v_subbrev_co_u32_e32 v2, vcc, 0, v0, vcc
	v_and_b32_e32 v2, 0xfffff, v2
	v_add_co_u32_e32 v0, vcc, v2, v0
	v_add_u32_e32 v7, -1, v6
	v_addc_co_u32_e32 v1, vcc, 0, v1, vcc
	v_cmp_ne_u32_e32 vcc, 0, v7
                                        ; implicit-def: $vgpr2
	s_and_saveexec_b64 s[0:1], vcc
	s_xor_b64 s[0:1], exec, s[0:1]
; %bb.112:
	v_and_b32_e32 v2, 0x1000000, v0
	v_cmp_eq_u64_e32 vcc, 0, v[2:3]
	v_bfe_u32 v3, v0, 24, 1
	v_cndmask_b32_e32 v2, v6, v7, vcc
	v_lshrrev_b64 v[0:1], v3, v[0:1]
; %bb.113:
	s_andn2_saveexec_b64 s[0:1], s[0:1]
; %bb.114:
	v_bfe_u32 v2, v0, 23, 1
; %bb.115:
	s_or_b64 exec, exec, s[0:1]
	v_lshrrev_b64 v[0:1], 20, v[0:1]
	v_cmp_gt_i32_e32 vcc, 16, v2
	v_cndmask_b32_e32 v1, 0, v1, vcc
	v_cndmask_b32_e32 v0, 7, v0, vcc
	v_cmp_ne_u32_e32 vcc, 0, v2
	v_cmp_ne_u64_e64 s[0:1], 0, v[0:1]
	s_or_b64 s[14:15], vcc, s[0:1]
	s_and_saveexec_b64 s[0:1], s[14:15]
; %bb.116:
	v_min_i32_e32 v1, 15, v2
	v_lshlrev_b32_e32 v1, 3, v1
	v_and_b32_e32 v0, 7, v0
	v_and_b32_e32 v1, 0xf8, v1
	v_or3_b32 v5, v1, v0, v5
; %bb.117:
	s_or_b64 exec, exec, s[0:1]
	v_mov_b32_e32 v2, v5
.LBB0_118:
	s_or_b64 exec, exec, s[12:13]
.LBB0_119:
	s_or_b64 exec, exec, s[8:9]
                                        ; implicit-def: $vgpr3
                                        ; implicit-def: $vgpr0_vgpr1
.LBB0_120:
	s_andn2_saveexec_b64 s[0:1], s[6:7]
; %bb.121:
	s_movk_i32 s6, 0x7f
	v_or_b32_sdwa v3, v3, s6 dst_sel:DWORD dst_unused:UNUSED_PAD src0_sel:BYTE_3 src1_sel:DWORD
	v_cmp_eq_u64_e32 vcc, 0, v[0:1]
	v_cndmask_b32_e32 v2, v3, v2, vcc
; %bb.122:
	s_or_b64 exec, exec, s[0:1]
	v_lshlrev_b32_e32 v0, 16, v4
	v_lshl_or_b32 v0, v2, 24, v0
	v_lshlrev_b32_e32 v1, 8, v12
	v_or3_b32 v2, v0, v1, v14
	v_lshlrev_b64 v[0:1], 2, v[8:9]
	v_add_co_u32_e32 v0, vcc, v16, v0
	v_addc_co_u32_e32 v1, vcc, v17, v1, vcc
	global_store_dword v[0:1], v2, off
.LBB0_123:
	s_or_b64 exec, exec, s[4:5]
	s_cmp_lg_u64 s[10:11], 0
	s_cselect_b64 s[0:1], -1, 0
	v_cmp_eq_u32_e32 vcc, 0, v8
	s_and_b64 s[0:1], s[0:1], vcc
	s_and_saveexec_b64 s[4:5], s[0:1]
	s_cbranch_execz .LBB0_125
; %bb.124:
	s_mov_b32 s0, 0x800000
	v_mov_b32_e32 v0, 0x4f800000
	v_cmp_gt_f32_e32 vcc, s0, v20
	v_cndmask_b32_e32 v0, 1.0, v0, vcc
	v_mul_f32_e32 v0, v20, v0
	v_log_f32_e32 v2, v0
	v_mov_b32_e32 v1, s11
	v_add_co_u32_e64 v0, s[0:1], s10, v10
	v_addc_co_u32_e64 v1, s[0:1], v1, v11, s[0:1]
	s_mov_b32 s0, 0x3f317217
	v_mul_f32_e32 v3, 0x3f317217, v2
	v_fma_f32 v4, v2, s0, -v3
	v_fmac_f32_e32 v4, 0x3377d1cf, v2
	s_mov_b32 s0, 0x7f800000
	v_add_f32_e32 v3, v3, v4
	v_cmp_lt_f32_e64 s[0:1], |v2|, s0
	v_cndmask_b32_e64 v2, v2, v3, s[0:1]
	v_mov_b32_e32 v3, 0x41b17218
	v_cndmask_b32_e32 v3, 0, v3, vcc
	v_sub_f32_e32 v2, v2, v3
	v_add_f32_e32 v2, v19, v2
	global_store_dword v[0:1], v2, off
.LBB0_125:
	s_or_b64 exec, exec, s[4:5]
                                        ; implicit-def: $vgpr19
                                        ; implicit-def: $vgpr10_vgpr11
                                        ; implicit-def: $vgpr0
                                        ; implicit-def: $vgpr1
                                        ; implicit-def: $vgpr8
                                        ; implicit-def: $vgpr6
                                        ; implicit-def: $vgpr18
                                        ; implicit-def: $vgpr16
                                        ; implicit-def: $vgpr17
.LBB0_126:
	s_andn2_saveexec_b64 s[0:1], s[2:3]
	s_cbranch_execz .LBB0_187
; %bb.127:
	v_cmp_gt_u32_e32 vcc, s18, v6
	s_and_saveexec_b64 s[2:3], vcc
	s_cbranch_execz .LBB0_185
; %bb.128:
	v_mov_b32_e32 v9, 0
	v_lshlrev_b64 v[2:3], 4, v[8:9]
	v_add_co_u32_e32 v0, vcc, v0, v2
	v_addc_co_u32_e32 v1, vcc, v1, v3, vcc
	global_load_dwordx4 v[0:3], v[0:1], off
	s_movk_i32 s4, 0x80
	s_mov_b64 s[0:1], 0x7f800000
	v_mov_b32_e32 v13, v9
	v_mov_b32_e32 v5, v9
	s_waitcnt vmcnt(0)
	v_mul_f32_e32 v0, v18, v0
	v_min_f32_e32 v0, 0x43e00000, v0
	v_max_f32_e32 v7, 0xc3e00000, v0
	v_and_b32_sdwa v0, v7, s4 dst_sel:DWORD dst_unused:UNUSED_PAD src0_sel:BYTE_3 src1_sel:DWORD
	v_and_b32_e32 v12, 0x7f800000, v7
	v_and_b32_e32 v4, 0x7fffff, v7
	v_or_b32_e32 v6, 0x7e, v0
	v_cmp_ne_u64_e32 vcc, s[0:1], v[12:13]
	s_and_saveexec_b64 s[0:1], vcc
	s_xor_b64 s[4:5], exec, s[0:1]
	s_cbranch_execz .LBB0_140
; %bb.129:
	v_and_b32_e32 v12, 0x7fffffff, v7
	v_mov_b32_e32 v13, v9
	s_mov_b64 s[0:1], 0x43e00001
	v_cmp_gt_u64_e32 vcc, s[0:1], v[12:13]
	s_and_saveexec_b64 s[6:7], vcc
	s_cbranch_execz .LBB0_139
; %bb.130:
	v_cmp_ne_u32_e32 vcc, 0, v7
	v_mov_b32_e32 v6, 0
	s_and_saveexec_b64 s[8:9], vcc
	s_cbranch_execz .LBB0_138
; %bb.131:
	v_bfe_u32 v6, v7, 23, 8
	s_movk_i32 s0, 0x79
	v_sub_u32_e64 v7, s0, v6 clamp
	v_mov_b32_e32 v13, 0x78
	v_cmp_eq_u32_e32 vcc, 0, v6
	v_cndmask_b32_e32 v15, v7, v13, vcc
	v_add_u32_e32 v14, 0xffffff88, v6
	v_add_u32_e32 v6, 20, v15
	v_or_b32_e32 v12, 0x800000, v4
	v_lshlrev_b64 v[6:7], v6, -1
	v_cndmask_b32_e32 v4, v12, v4, vcc
	v_not_b32_e32 v7, v7
	v_not_b32_e32 v6, v6
	v_add_u32_e32 v12, 19, v15
	v_and_b32_e32 v7, 0, v7
	v_and_b32_e32 v6, v4, v6
	v_lshlrev_b64 v[12:13], v12, 1
	v_cmp_eq_u64_e64 s[0:1], v[6:7], v[12:13]
	v_lshrrev_b64 v[4:5], v15, v[4:5]
	v_mov_b32_e32 v6, 0xffffff89
	v_cndmask_b32_e32 v6, v14, v6, vcc
	v_lshrrev_b32_e32 v7, 23, v4
	v_add3_u32 v12, v6, v15, v7
	v_and_b32_e32 v6, 0x100000, v4
	v_mov_b32_e32 v7, 0
	v_cmp_eq_u64_e32 vcc, 0, v[6:7]
	s_and_b64 vcc, vcc, s[0:1]
	v_subbrev_co_u32_e32 v6, vcc, 0, v4, vcc
	v_and_b32_e32 v6, 0xfffff, v6
	v_add_co_u32_e32 v4, vcc, v6, v4
	v_add_u32_e32 v13, -1, v12
	v_addc_co_u32_e32 v5, vcc, 0, v5, vcc
	v_cmp_ne_u32_e32 vcc, 0, v13
                                        ; implicit-def: $vgpr6
	s_and_saveexec_b64 s[0:1], vcc
	s_xor_b64 s[0:1], exec, s[0:1]
; %bb.132:
	v_and_b32_e32 v6, 0x1000000, v4
	v_cmp_eq_u64_e32 vcc, 0, v[6:7]
	v_bfe_u32 v7, v4, 24, 1
	v_cndmask_b32_e32 v6, v12, v13, vcc
	v_lshrrev_b64 v[4:5], v7, v[4:5]
; %bb.133:
	s_andn2_saveexec_b64 s[0:1], s[0:1]
; %bb.134:
	v_bfe_u32 v6, v4, 23, 1
; %bb.135:
	s_or_b64 exec, exec, s[0:1]
	v_lshrrev_b64 v[4:5], 20, v[4:5]
	v_cmp_gt_i32_e32 vcc, 16, v6
	v_cndmask_b32_e32 v5, 0, v5, vcc
	v_cndmask_b32_e32 v4, 7, v4, vcc
	v_cmp_ne_u32_e32 vcc, 0, v6
	v_cmp_ne_u64_e64 s[0:1], 0, v[4:5]
	s_or_b64 s[12:13], vcc, s[0:1]
	s_and_saveexec_b64 s[0:1], s[12:13]
; %bb.136:
	v_min_i32_e32 v5, 15, v6
	v_lshlrev_b32_e32 v5, 3, v5
	v_and_b32_e32 v4, 7, v4
	v_and_b32_e32 v5, 0xf8, v5
	v_or3_b32 v0, v5, v4, v0
; %bb.137:
	s_or_b64 exec, exec, s[0:1]
	v_mov_b32_e32 v6, v0
.LBB0_138:
	s_or_b64 exec, exec, s[8:9]
.LBB0_139:
	s_or_b64 exec, exec, s[6:7]
                                        ; implicit-def: $vgpr7
                                        ; implicit-def: $vgpr4_vgpr5
.LBB0_140:
	s_andn2_saveexec_b64 s[0:1], s[4:5]
; %bb.141:
	s_movk_i32 s4, 0x7f
	v_or_b32_sdwa v0, v7, s4 dst_sel:DWORD dst_unused:UNUSED_PAD src0_sel:BYTE_3 src1_sel:DWORD
	v_cmp_eq_u64_e32 vcc, 0, v[4:5]
	v_cndmask_b32_e32 v6, v0, v6, vcc
; %bb.142:
	s_or_b64 exec, exec, s[0:1]
	v_mul_f32_e32 v0, v18, v1
	v_min_f32_e32 v0, 0x43e00000, v0
	v_max_f32_e32 v4, 0xc3e00000, v0
	v_mov_b32_e32 v1, 0
	s_movk_i32 s0, 0x80
	v_and_b32_sdwa v12, v4, s0 dst_sel:DWORD dst_unused:UNUSED_PAD src0_sel:BYTE_3 src1_sel:DWORD
	v_and_b32_e32 v14, 0x7f800000, v4
	v_mov_b32_e32 v15, v1
	s_mov_b64 s[0:1], 0x7f800000
	v_and_b32_e32 v0, 0x7fffff, v4
	v_or_b32_e32 v7, 0x7e, v12
	v_cmp_ne_u64_e32 vcc, s[0:1], v[14:15]
	s_and_saveexec_b64 s[0:1], vcc
	s_xor_b64 s[4:5], exec, s[0:1]
	s_cbranch_execz .LBB0_154
; %bb.143:
	v_and_b32_e32 v14, 0x7fffffff, v4
	v_mov_b32_e32 v15, v1
	s_mov_b64 s[0:1], 0x43e00001
	v_cmp_gt_u64_e32 vcc, s[0:1], v[14:15]
	s_and_saveexec_b64 s[6:7], vcc
	s_cbranch_execz .LBB0_153
; %bb.144:
	v_cmp_ne_u32_e32 vcc, 0, v4
	v_mov_b32_e32 v7, 0
	s_and_saveexec_b64 s[8:9], vcc
	s_cbranch_execz .LBB0_152
; %bb.145:
	v_bfe_u32 v4, v4, 23, 8
	s_movk_i32 s0, 0x79
	v_sub_u32_e64 v5, s0, v4 clamp
	v_mov_b32_e32 v14, 0x78
	v_cmp_eq_u32_e32 vcc, 0, v4
	v_cndmask_b32_e32 v20, v5, v14, vcc
	v_add_u32_e32 v13, 0xffffff88, v4
	v_add_u32_e32 v4, 20, v20
	v_or_b32_e32 v7, 0x800000, v0
	v_lshlrev_b64 v[4:5], v4, -1
	v_cndmask_b32_e32 v0, v7, v0, vcc
	v_not_b32_e32 v5, v5
	v_not_b32_e32 v4, v4
	v_add_u32_e32 v7, 19, v20
	v_and_b32_e32 v5, 0, v5
	v_and_b32_e32 v4, v0, v4
	v_lshlrev_b64 v[14:15], v7, 1
	v_cmp_eq_u64_e64 s[0:1], v[4:5], v[14:15]
	v_lshrrev_b64 v[0:1], v20, v[0:1]
	v_mov_b32_e32 v4, 0xffffff89
	v_cndmask_b32_e32 v4, v13, v4, vcc
	v_lshrrev_b32_e32 v5, 23, v0
	v_add3_u32 v7, v4, v20, v5
	v_and_b32_e32 v4, 0x100000, v0
	v_mov_b32_e32 v5, 0
	v_cmp_eq_u64_e32 vcc, 0, v[4:5]
	s_and_b64 vcc, vcc, s[0:1]
	v_subbrev_co_u32_e32 v4, vcc, 0, v0, vcc
	v_and_b32_e32 v4, 0xfffff, v4
	v_add_co_u32_e32 v0, vcc, v4, v0
	v_add_u32_e32 v13, -1, v7
	v_addc_co_u32_e32 v1, vcc, 0, v1, vcc
	v_cmp_ne_u32_e32 vcc, 0, v13
                                        ; implicit-def: $vgpr4
	s_and_saveexec_b64 s[0:1], vcc
	s_xor_b64 s[0:1], exec, s[0:1]
; %bb.146:
	v_and_b32_e32 v4, 0x1000000, v0
	v_cmp_eq_u64_e32 vcc, 0, v[4:5]
	v_bfe_u32 v5, v0, 24, 1
	v_cndmask_b32_e32 v4, v7, v13, vcc
	v_lshrrev_b64 v[0:1], v5, v[0:1]
; %bb.147:
	s_andn2_saveexec_b64 s[0:1], s[0:1]
; %bb.148:
	v_bfe_u32 v4, v0, 23, 1
; %bb.149:
	s_or_b64 exec, exec, s[0:1]
	v_lshrrev_b64 v[0:1], 20, v[0:1]
	v_cmp_gt_i32_e32 vcc, 16, v4
	v_cndmask_b32_e32 v1, 0, v1, vcc
	v_cndmask_b32_e32 v0, 7, v0, vcc
	v_cmp_ne_u32_e32 vcc, 0, v4
	v_cmp_ne_u64_e64 s[0:1], 0, v[0:1]
	s_or_b64 s[12:13], vcc, s[0:1]
	s_and_saveexec_b64 s[0:1], s[12:13]
; %bb.150:
	v_min_i32_e32 v1, 15, v4
	v_lshlrev_b32_e32 v1, 3, v1
	v_and_b32_e32 v0, 7, v0
	v_and_b32_e32 v1, 0xf8, v1
	v_or3_b32 v12, v1, v0, v12
; %bb.151:
	s_or_b64 exec, exec, s[0:1]
	v_mov_b32_e32 v7, v12
.LBB0_152:
	s_or_b64 exec, exec, s[8:9]
.LBB0_153:
	s_or_b64 exec, exec, s[6:7]
                                        ; implicit-def: $vgpr4
                                        ; implicit-def: $vgpr0_vgpr1
.LBB0_154:
	s_andn2_saveexec_b64 s[0:1], s[4:5]
; %bb.155:
	s_movk_i32 s4, 0x7f
	v_or_b32_sdwa v4, v4, s4 dst_sel:DWORD dst_unused:UNUSED_PAD src0_sel:BYTE_3 src1_sel:DWORD
	v_cmp_eq_u64_e32 vcc, 0, v[0:1]
	v_cndmask_b32_e32 v7, v4, v7, vcc
; %bb.156:
	s_or_b64 exec, exec, s[0:1]
	v_mul_f32_e32 v0, v18, v2
	v_min_f32_e32 v0, 0x43e00000, v0
	v_max_f32_e32 v5, 0xc3e00000, v0
	v_mov_b32_e32 v1, 0
	s_movk_i32 s0, 0x80
	v_and_b32_sdwa v2, v5, s0 dst_sel:DWORD dst_unused:UNUSED_PAD src0_sel:BYTE_3 src1_sel:DWORD
	v_and_b32_e32 v12, 0x7f800000, v5
	v_mov_b32_e32 v13, v1
	s_mov_b64 s[0:1], 0x7f800000
	v_and_b32_e32 v0, 0x7fffff, v5
	v_or_b32_e32 v4, 0x7e, v2
	v_cmp_ne_u64_e32 vcc, s[0:1], v[12:13]
	s_and_saveexec_b64 s[0:1], vcc
	s_xor_b64 s[4:5], exec, s[0:1]
	s_cbranch_execz .LBB0_168
; %bb.157:
	v_and_b32_e32 v12, 0x7fffffff, v5
	v_mov_b32_e32 v13, v1
	s_mov_b64 s[0:1], 0x43e00001
	v_cmp_gt_u64_e32 vcc, s[0:1], v[12:13]
	s_and_saveexec_b64 s[6:7], vcc
	s_cbranch_execz .LBB0_167
; %bb.158:
	v_cmp_ne_u32_e32 vcc, 0, v5
	v_mov_b32_e32 v4, 0
	s_and_saveexec_b64 s[8:9], vcc
	s_cbranch_execz .LBB0_166
; %bb.159:
	v_bfe_u32 v4, v5, 23, 8
	s_movk_i32 s0, 0x79
	v_sub_u32_e64 v5, s0, v4 clamp
	v_mov_b32_e32 v13, 0x78
	v_cmp_eq_u32_e32 vcc, 0, v4
	v_cndmask_b32_e32 v15, v5, v13, vcc
	v_add_u32_e32 v14, 0xffffff88, v4
	v_add_u32_e32 v4, 20, v15
	v_or_b32_e32 v12, 0x800000, v0
	v_lshlrev_b64 v[4:5], v4, -1
	v_cndmask_b32_e32 v0, v12, v0, vcc
	v_not_b32_e32 v5, v5
	v_not_b32_e32 v4, v4
	v_add_u32_e32 v12, 19, v15
	v_and_b32_e32 v5, 0, v5
	v_and_b32_e32 v4, v0, v4
	v_lshlrev_b64 v[12:13], v12, 1
	v_cmp_eq_u64_e64 s[0:1], v[4:5], v[12:13]
	v_lshrrev_b64 v[0:1], v15, v[0:1]
	v_mov_b32_e32 v4, 0xffffff89
	v_cndmask_b32_e32 v4, v14, v4, vcc
	v_lshrrev_b32_e32 v5, 23, v0
	v_add3_u32 v12, v4, v15, v5
	v_and_b32_e32 v4, 0x100000, v0
	v_mov_b32_e32 v5, 0
	v_cmp_eq_u64_e32 vcc, 0, v[4:5]
	s_and_b64 vcc, vcc, s[0:1]
	v_subbrev_co_u32_e32 v4, vcc, 0, v0, vcc
	v_and_b32_e32 v4, 0xfffff, v4
	v_add_co_u32_e32 v0, vcc, v4, v0
	v_add_u32_e32 v13, -1, v12
	v_addc_co_u32_e32 v1, vcc, 0, v1, vcc
	v_cmp_ne_u32_e32 vcc, 0, v13
                                        ; implicit-def: $vgpr4
	s_and_saveexec_b64 s[0:1], vcc
	s_xor_b64 s[0:1], exec, s[0:1]
; %bb.160:
	v_and_b32_e32 v4, 0x1000000, v0
	v_cmp_eq_u64_e32 vcc, 0, v[4:5]
	v_bfe_u32 v5, v0, 24, 1
	v_cndmask_b32_e32 v4, v12, v13, vcc
	v_lshrrev_b64 v[0:1], v5, v[0:1]
; %bb.161:
	s_andn2_saveexec_b64 s[0:1], s[0:1]
; %bb.162:
	v_bfe_u32 v4, v0, 23, 1
; %bb.163:
	s_or_b64 exec, exec, s[0:1]
	v_lshrrev_b64 v[0:1], 20, v[0:1]
	v_cmp_gt_i32_e32 vcc, 16, v4
	v_cndmask_b32_e32 v1, 0, v1, vcc
	v_cndmask_b32_e32 v0, 7, v0, vcc
	v_cmp_ne_u32_e32 vcc, 0, v4
	v_cmp_ne_u64_e64 s[0:1], 0, v[0:1]
	s_or_b64 s[12:13], vcc, s[0:1]
	s_and_saveexec_b64 s[0:1], s[12:13]
; %bb.164:
	v_min_i32_e32 v1, 15, v4
	v_lshlrev_b32_e32 v1, 3, v1
	v_and_b32_e32 v0, 7, v0
	v_and_b32_e32 v1, 0xf8, v1
	v_or3_b32 v2, v1, v0, v2
; %bb.165:
	s_or_b64 exec, exec, s[0:1]
	v_mov_b32_e32 v4, v2
.LBB0_166:
	s_or_b64 exec, exec, s[8:9]
.LBB0_167:
	s_or_b64 exec, exec, s[6:7]
                                        ; implicit-def: $vgpr5
                                        ; implicit-def: $vgpr0_vgpr1
.LBB0_168:
	s_andn2_saveexec_b64 s[0:1], s[4:5]
; %bb.169:
	s_movk_i32 s4, 0x7f
	v_or_b32_sdwa v2, v5, s4 dst_sel:DWORD dst_unused:UNUSED_PAD src0_sel:BYTE_3 src1_sel:DWORD
	v_cmp_eq_u64_e32 vcc, 0, v[0:1]
	v_cndmask_b32_e32 v4, v2, v4, vcc
; %bb.170:
	s_or_b64 exec, exec, s[0:1]
	v_mul_f32_e32 v0, v18, v3
	v_min_f32_e32 v0, 0x43e00000, v0
	v_max_f32_e32 v3, 0xc3e00000, v0
	v_mov_b32_e32 v1, 0
	s_movk_i32 s0, 0x80
	v_and_b32_sdwa v5, v3, s0 dst_sel:DWORD dst_unused:UNUSED_PAD src0_sel:BYTE_3 src1_sel:DWORD
	v_and_b32_e32 v12, 0x7f800000, v3
	v_mov_b32_e32 v13, v1
	s_mov_b64 s[0:1], 0x7f800000
	v_and_b32_e32 v0, 0x7fffff, v3
	v_or_b32_e32 v2, 0x7e, v5
	v_cmp_ne_u64_e32 vcc, s[0:1], v[12:13]
	s_and_saveexec_b64 s[0:1], vcc
	s_xor_b64 s[4:5], exec, s[0:1]
	s_cbranch_execz .LBB0_182
; %bb.171:
	v_and_b32_e32 v12, 0x7fffffff, v3
	v_mov_b32_e32 v13, v1
	s_mov_b64 s[0:1], 0x43e00001
	v_cmp_gt_u64_e32 vcc, s[0:1], v[12:13]
	s_and_saveexec_b64 s[6:7], vcc
	s_cbranch_execz .LBB0_181
; %bb.172:
	v_cmp_ne_u32_e32 vcc, 0, v3
	v_mov_b32_e32 v2, 0
	s_and_saveexec_b64 s[8:9], vcc
	s_cbranch_execz .LBB0_180
; %bb.173:
	v_bfe_u32 v2, v3, 23, 8
	s_movk_i32 s0, 0x79
	v_sub_u32_e64 v3, s0, v2 clamp
	v_mov_b32_e32 v13, 0x78
	v_cmp_eq_u32_e32 vcc, 0, v2
	v_cndmask_b32_e32 v15, v3, v13, vcc
	v_add_u32_e32 v14, 0xffffff88, v2
	v_add_u32_e32 v2, 20, v15
	v_or_b32_e32 v12, 0x800000, v0
	v_lshlrev_b64 v[2:3], v2, -1
	v_cndmask_b32_e32 v0, v12, v0, vcc
	v_not_b32_e32 v3, v3
	v_not_b32_e32 v2, v2
	v_add_u32_e32 v12, 19, v15
	v_and_b32_e32 v3, 0, v3
	v_and_b32_e32 v2, v0, v2
	v_lshlrev_b64 v[12:13], v12, 1
	v_cmp_eq_u64_e64 s[0:1], v[2:3], v[12:13]
	v_lshrrev_b64 v[0:1], v15, v[0:1]
	v_mov_b32_e32 v2, 0xffffff89
	v_cndmask_b32_e32 v2, v14, v2, vcc
	v_lshrrev_b32_e32 v3, 23, v0
	v_add3_u32 v12, v2, v15, v3
	v_and_b32_e32 v2, 0x100000, v0
	v_mov_b32_e32 v3, 0
	v_cmp_eq_u64_e32 vcc, 0, v[2:3]
	s_and_b64 vcc, vcc, s[0:1]
	v_subbrev_co_u32_e32 v2, vcc, 0, v0, vcc
	v_and_b32_e32 v2, 0xfffff, v2
	v_add_co_u32_e32 v0, vcc, v2, v0
	v_add_u32_e32 v13, -1, v12
	v_addc_co_u32_e32 v1, vcc, 0, v1, vcc
	v_cmp_ne_u32_e32 vcc, 0, v13
                                        ; implicit-def: $vgpr2
	s_and_saveexec_b64 s[0:1], vcc
	s_xor_b64 s[0:1], exec, s[0:1]
; %bb.174:
	v_and_b32_e32 v2, 0x1000000, v0
	v_cmp_eq_u64_e32 vcc, 0, v[2:3]
	v_bfe_u32 v3, v0, 24, 1
	v_cndmask_b32_e32 v2, v12, v13, vcc
	v_lshrrev_b64 v[0:1], v3, v[0:1]
; %bb.175:
	s_andn2_saveexec_b64 s[0:1], s[0:1]
; %bb.176:
	v_bfe_u32 v2, v0, 23, 1
; %bb.177:
	s_or_b64 exec, exec, s[0:1]
	v_lshrrev_b64 v[0:1], 20, v[0:1]
	v_cmp_gt_i32_e32 vcc, 16, v2
	v_cndmask_b32_e32 v1, 0, v1, vcc
	v_cndmask_b32_e32 v0, 7, v0, vcc
	v_cmp_ne_u32_e32 vcc, 0, v2
	v_cmp_ne_u64_e64 s[0:1], 0, v[0:1]
	s_or_b64 s[12:13], vcc, s[0:1]
	s_and_saveexec_b64 s[0:1], s[12:13]
; %bb.178:
	v_min_i32_e32 v1, 15, v2
	v_lshlrev_b32_e32 v1, 3, v1
	v_and_b32_e32 v0, 7, v0
	v_and_b32_e32 v1, 0xf8, v1
	v_or3_b32 v5, v1, v0, v5
; %bb.179:
	s_or_b64 exec, exec, s[0:1]
	v_mov_b32_e32 v2, v5
.LBB0_180:
	s_or_b64 exec, exec, s[8:9]
.LBB0_181:
	s_or_b64 exec, exec, s[6:7]
                                        ; implicit-def: $vgpr3
                                        ; implicit-def: $vgpr0_vgpr1
.LBB0_182:
	s_andn2_saveexec_b64 s[0:1], s[4:5]
; %bb.183:
	s_movk_i32 s4, 0x7f
	v_or_b32_sdwa v3, v3, s4 dst_sel:DWORD dst_unused:UNUSED_PAD src0_sel:BYTE_3 src1_sel:DWORD
	v_cmp_eq_u64_e32 vcc, 0, v[0:1]
	v_cndmask_b32_e32 v2, v3, v2, vcc
; %bb.184:
	s_or_b64 exec, exec, s[0:1]
	v_lshlrev_b32_e32 v0, 16, v4
	v_lshl_or_b32 v0, v2, 24, v0
	v_lshlrev_b32_e32 v1, 8, v7
	v_or3_b32 v2, v0, v1, v6
	v_lshlrev_b64 v[0:1], 2, v[8:9]
	v_add_co_u32_e32 v0, vcc, v16, v0
	v_addc_co_u32_e32 v1, vcc, v17, v1, vcc
	global_store_dword v[0:1], v2, off
.LBB0_185:
	s_or_b64 exec, exec, s[2:3]
	s_cmp_lg_u64 s[10:11], 0
	s_cselect_b64 s[0:1], -1, 0
	v_cmp_eq_u32_e32 vcc, 0, v8
	s_and_b64 s[0:1], s[0:1], vcc
	s_and_saveexec_b64 s[2:3], s[0:1]
	s_cbranch_execz .LBB0_187
; %bb.186:
	v_mov_b32_e32 v1, s11
	v_add_co_u32_e32 v0, vcc, s10, v10
	v_addc_co_u32_e32 v1, vcc, v1, v11, vcc
	global_store_dword v[0:1], v19, off
.LBB0_187:
	s_endpgm
	.section	.rodata,"a",@progbits
	.p2align	6, 0x0
	.amdhsa_kernel _ZN4vllm24merge_attn_states_kernelIfN3c1013Float8_e4m3fnELj128ELb1EEEvPT0_PfPKT_PKfS8_SA_jjjjjjSA_
		.amdhsa_group_segment_fixed_size 0
		.amdhsa_private_segment_fixed_size 0
		.amdhsa_kernarg_size 80
		.amdhsa_user_sgpr_count 6
		.amdhsa_user_sgpr_private_segment_buffer 1
		.amdhsa_user_sgpr_dispatch_ptr 0
		.amdhsa_user_sgpr_queue_ptr 0
		.amdhsa_user_sgpr_kernarg_segment_ptr 1
		.amdhsa_user_sgpr_dispatch_id 0
		.amdhsa_user_sgpr_flat_scratch_init 0
		.amdhsa_user_sgpr_kernarg_preload_length 0
		.amdhsa_user_sgpr_kernarg_preload_offset 0
		.amdhsa_user_sgpr_private_segment_size 0
		.amdhsa_uses_dynamic_stack 0
		.amdhsa_system_sgpr_private_segment_wavefront_offset 0
		.amdhsa_system_sgpr_workgroup_id_x 1
		.amdhsa_system_sgpr_workgroup_id_y 0
		.amdhsa_system_sgpr_workgroup_id_z 0
		.amdhsa_system_sgpr_workgroup_info 0
		.amdhsa_system_vgpr_workitem_id 0
		.amdhsa_next_free_vgpr 31
		.amdhsa_next_free_sgpr 26
		.amdhsa_accum_offset 32
		.amdhsa_reserve_vcc 1
		.amdhsa_reserve_flat_scratch 0
		.amdhsa_float_round_mode_32 0
		.amdhsa_float_round_mode_16_64 0
		.amdhsa_float_denorm_mode_32 3
		.amdhsa_float_denorm_mode_16_64 3
		.amdhsa_dx10_clamp 1
		.amdhsa_ieee_mode 1
		.amdhsa_fp16_overflow 0
		.amdhsa_tg_split 0
		.amdhsa_exception_fp_ieee_invalid_op 0
		.amdhsa_exception_fp_denorm_src 0
		.amdhsa_exception_fp_ieee_div_zero 0
		.amdhsa_exception_fp_ieee_overflow 0
		.amdhsa_exception_fp_ieee_underflow 0
		.amdhsa_exception_fp_ieee_inexact 0
		.amdhsa_exception_int_div_zero 0
	.end_amdhsa_kernel
	.section	.text._ZN4vllm24merge_attn_states_kernelIfN3c1013Float8_e4m3fnELj128ELb1EEEvPT0_PfPKT_PKfS8_SA_jjjjjjSA_,"axG",@progbits,_ZN4vllm24merge_attn_states_kernelIfN3c1013Float8_e4m3fnELj128ELb1EEEvPT0_PfPKT_PKfS8_SA_jjjjjjSA_,comdat
.Lfunc_end0:
	.size	_ZN4vllm24merge_attn_states_kernelIfN3c1013Float8_e4m3fnELj128ELb1EEEvPT0_PfPKT_PKfS8_SA_jjjjjjSA_, .Lfunc_end0-_ZN4vllm24merge_attn_states_kernelIfN3c1013Float8_e4m3fnELj128ELb1EEEvPT0_PfPKT_PKfS8_SA_jjjjjjSA_
                                        ; -- End function
	.section	.AMDGPU.csdata,"",@progbits
; Kernel info:
; codeLenInByte = 7444
; NumSgprs: 30
; NumVgprs: 31
; NumAgprs: 0
; TotalNumVgprs: 31
; ScratchSize: 0
; MemoryBound: 0
; FloatMode: 240
; IeeeMode: 1
; LDSByteSize: 0 bytes/workgroup (compile time only)
; SGPRBlocks: 3
; VGPRBlocks: 3
; NumSGPRsForWavesPerEU: 30
; NumVGPRsForWavesPerEU: 31
; AccumOffset: 32
; Occupancy: 8
; WaveLimiterHint : 0
; COMPUTE_PGM_RSRC2:SCRATCH_EN: 0
; COMPUTE_PGM_RSRC2:USER_SGPR: 6
; COMPUTE_PGM_RSRC2:TRAP_HANDLER: 0
; COMPUTE_PGM_RSRC2:TGID_X_EN: 1
; COMPUTE_PGM_RSRC2:TGID_Y_EN: 0
; COMPUTE_PGM_RSRC2:TGID_Z_EN: 0
; COMPUTE_PGM_RSRC2:TIDIG_COMP_CNT: 0
; COMPUTE_PGM_RSRC3_GFX90A:ACCUM_OFFSET: 7
; COMPUTE_PGM_RSRC3_GFX90A:TG_SPLIT: 0
	.section	.text._ZN4vllm24merge_attn_states_kernelIfN3c1015Float8_e4m3fnuzELj128ELb1EEEvPT0_PfPKT_PKfS8_SA_jjjjjjSA_,"axG",@progbits,_ZN4vllm24merge_attn_states_kernelIfN3c1015Float8_e4m3fnuzELj128ELb1EEEvPT0_PfPKT_PKfS8_SA_jjjjjjSA_,comdat
	.protected	_ZN4vllm24merge_attn_states_kernelIfN3c1015Float8_e4m3fnuzELj128ELb1EEEvPT0_PfPKT_PKfS8_SA_jjjjjjSA_ ; -- Begin function _ZN4vllm24merge_attn_states_kernelIfN3c1015Float8_e4m3fnuzELj128ELb1EEEvPT0_PfPKT_PKfS8_SA_jjjjjjSA_
	.globl	_ZN4vllm24merge_attn_states_kernelIfN3c1015Float8_e4m3fnuzELj128ELb1EEEvPT0_PfPKT_PKfS8_SA_jjjjjjSA_
	.p2align	8
	.type	_ZN4vllm24merge_attn_states_kernelIfN3c1015Float8_e4m3fnuzELj128ELb1EEEvPT0_PfPKT_PKfS8_SA_jjjjjjSA_,@function
_ZN4vllm24merge_attn_states_kernelIfN3c1015Float8_e4m3fnuzELj128ELb1EEEvPT0_PfPKT_PKfS8_SA_jjjjjjSA_: ; @_ZN4vllm24merge_attn_states_kernelIfN3c1015Float8_e4m3fnuzELj128ELb1EEEvPT0_PfPKT_PKfS8_SA_jjjjjjSA_
; %bb.0:
	s_load_dwordx4 s[16:19], s[4:5], 0x30
	v_lshl_add_u32 v0, s6, 7, v0
	s_waitcnt lgkmcnt(0)
	s_lshr_b32 s6, s18, 2
	s_mul_i32 s0, s17, s16
	s_mul_i32 s0, s0, s6
	v_cmp_gt_u32_e32 vcc, s0, v0
	s_and_saveexec_b64 s[0:1], vcc
	s_cbranch_execz .LBB1_115
; %bb.1:
	v_cvt_f32_u32_e32 v1, s6
	s_load_dwordx8 s[8:15], s[4:5], 0x0
	v_cvt_f32_u32_e32 v2, s17
	s_load_dwordx4 s[20:23], s[4:5], 0x40
	s_load_dwordx4 s[0:3], s[4:5], 0x20
	v_rcp_iflag_f32_e32 v1, v1
	s_sub_i32 s4, 0, s6
	v_rcp_iflag_f32_e32 v2, v2
	s_waitcnt lgkmcnt(0)
	v_mov_b32_e32 v9, s9
	v_mul_f32_e32 v1, 0x4f7ffffe, v1
	v_cvt_u32_f32_e32 v1, v1
	v_mul_f32_e32 v2, 0x4f7ffffe, v2
	v_cvt_u32_f32_e32 v2, v2
	v_mul_lo_u32 v3, s4, v1
	v_mul_hi_u32 v3, v1, v3
	v_add_u32_e32 v1, v1, v3
	v_mul_hi_u32 v1, v0, v1
	v_mul_lo_u32 v3, v1, s6
	v_sub_u32_e32 v3, v0, v3
	v_add_u32_e32 v4, 1, v1
	v_cmp_le_u32_e32 vcc, s6, v3
	v_cndmask_b32_e32 v1, v1, v4, vcc
	v_subrev_u32_e32 v4, s6, v3
	v_cndmask_b32_e32 v3, v3, v4, vcc
	v_add_u32_e32 v4, 1, v1
	v_cmp_le_u32_e32 vcc, s6, v3
	v_cndmask_b32_e32 v1, v1, v4, vcc
	v_mul_lo_u32 v3, v1, s6
	s_sub_i32 s4, 0, s17
	v_sub_u32_e32 v8, v0, v3
	v_mul_lo_u32 v0, s4, v2
	v_mul_hi_u32 v0, v2, v0
	v_add_u32_e32 v0, v2, v0
	v_mul_hi_u32 v0, v1, v0
	v_mul_lo_u32 v2, v0, s17
	v_sub_u32_e32 v2, v1, v2
	v_add_u32_e32 v3, 1, v0
	v_cmp_le_u32_e32 vcc, s17, v2
	v_cndmask_b32_e32 v0, v0, v3, vcc
	v_subrev_u32_e32 v3, s17, v2
	v_cndmask_b32_e32 v2, v2, v3, vcc
	v_add_u32_e32 v3, 1, v0
	v_cmp_le_u32_e32 vcc, s17, v2
	s_load_dword s4, s[22:23], 0x0
	v_cndmask_b32_e32 v4, v0, v3, vcc
	v_mul_lo_u32 v0, v4, s17
	v_sub_u32_e32 v5, v1, v0
	v_mul_lo_u32 v0, v1, s19
	v_mul_lo_u32 v7, v1, s20
	v_mov_b32_e32 v1, 0
	v_lshlrev_b64 v[0:1], 2, v[0:1]
	v_mov_b32_e32 v3, s1
	v_add_co_u32_e32 v2, vcc, s0, v0
	s_waitcnt lgkmcnt(0)
	v_div_scale_f32 v10, s[0:1], s4, s4, 1.0
	v_rcp_f32_e32 v11, v10
	v_addc_co_u32_e32 v3, vcc, v3, v1, vcc
	v_add_co_u32_e32 v16, vcc, s8, v7
	v_addc_co_u32_e32 v17, vcc, 0, v9, vcc
	v_fma_f32 v7, -v10, v11, 1.0
	v_fmac_f32_e32 v11, v7, v11
	v_div_scale_f32 v7, vcc, 1.0, s4, 1.0
	v_mul_f32_e32 v9, v7, v11
	v_fma_f32 v12, -v10, v9, v7
	v_fmac_f32_e32 v9, v12, v11
	v_fma_f32 v7, -v10, v9, v7
	v_div_fmas_f32 v7, v7, v11, v9
	v_lshlrev_b32_e32 v6, 2, v8
	v_div_fixup_f32 v18, v7, s4, 1.0
	v_cmp_le_u32_e32 vcc, s21, v4
	s_and_saveexec_b64 s[0:1], vcc
	s_xor_b64 s[4:5], exec, s[0:1]
	s_cbranch_execz .LBB1_39
; %bb.2:
	v_cmp_gt_u32_e32 vcc, s18, v6
	s_and_saveexec_b64 s[6:7], vcc
	s_cbranch_execz .LBB1_36
; %bb.3:
	v_mov_b32_e32 v9, 0
	v_lshlrev_b64 v[0:1], 4, v[8:9]
	v_add_co_u32_e32 v0, vcc, v2, v0
	v_addc_co_u32_e32 v1, vcc, v3, v1, vcc
	global_load_dwordx4 v[0:3], v[0:1], off
	s_mov_b64 s[8:9], 0x7f800000
	s_mov_b64 s[20:21], 0x43700001
	v_mov_b32_e32 v7, v9
	v_mov_b32_e32 v11, v9
	s_movk_i32 s17, 0x7f
	s_waitcnt vmcnt(0)
	v_mul_f32_e32 v0, v18, v0
	v_min_f32_e32 v0, 0x43600000, v0
	v_max_f32_e32 v0, 0xc3600000, v0
	v_and_b32_e32 v6, 0x7f800000, v0
	v_and_b32_e32 v10, 0x7fffffff, v0
	v_cmp_ne_u64_e32 vcc, s[8:9], v[6:7]
	v_cmp_gt_u64_e64 s[0:1], s[20:21], v[10:11]
	v_or_b32_sdwa v12, v0, s17 dst_sel:DWORD dst_unused:UNUSED_PAD src0_sel:BYTE_3 src1_sel:DWORD
	s_and_b64 s[0:1], vcc, s[0:1]
	s_and_saveexec_b64 s[22:23], s[0:1]
	s_cbranch_execz .LBB1_11
; %bb.4:
	v_cmp_ne_u32_e32 vcc, 0, v0
	v_mov_b32_e32 v12, v9
	s_and_saveexec_b64 s[24:25], vcc
	s_cbranch_execz .LBB1_10
; %bb.5:
	v_bfe_u32 v7, v0, 23, 8
	s_movk_i32 s0, 0x78
	v_and_b32_e32 v6, 0x7fffff, v0
	v_sub_u32_e64 v10, s0, v7 clamp
	v_mov_b32_e32 v12, 0x77
	v_cmp_eq_u32_e32 vcc, 0, v7
	v_or_b32_e32 v11, 0x800000, v6
	v_cndmask_b32_e32 v15, v10, v12, vcc
	v_cndmask_b32_e32 v10, v11, v6, vcc
	v_add_u32_e32 v6, 20, v15
	v_add_u32_e32 v14, 0xffffff89, v7
	v_lshlrev_b64 v[6:7], v6, -1
	v_mov_b32_e32 v11, 0
	v_not_b32_e32 v6, v6
	v_add_u32_e32 v12, 19, v15
	v_and_b32_e32 v6, v10, v6
	v_mov_b32_e32 v7, v11
	v_lshlrev_b64 v[12:13], v12, 1
	v_cmp_eq_u64_e64 s[0:1], v[6:7], v[12:13]
	v_lshrrev_b64 v[6:7], v15, v[10:11]
	v_mov_b32_e32 v10, 0xffffff8a
	v_cndmask_b32_e32 v10, v14, v10, vcc
	v_lshrrev_b32_e32 v12, 23, v6
	v_add3_u32 v12, v10, v15, v12
	v_and_b32_e32 v10, 0x100000, v6
	v_cmp_eq_u64_e32 vcc, 0, v[10:11]
	s_and_b64 vcc, vcc, s[0:1]
	v_subbrev_co_u32_e32 v10, vcc, 0, v6, vcc
	v_and_b32_e32 v10, 0xfffff, v10
	v_add_co_u32_e32 v6, vcc, v10, v6
	v_add_u32_e32 v13, -1, v12
	v_addc_co_u32_e32 v7, vcc, 0, v7, vcc
	v_cmp_ne_u32_e32 vcc, 0, v13
                                        ; implicit-def: $vgpr10
	s_and_saveexec_b64 s[0:1], vcc
	s_xor_b64 s[0:1], exec, s[0:1]
; %bb.6:
	v_and_b32_e32 v10, 0x1000000, v6
	v_cmp_eq_u64_e32 vcc, 0, v[10:11]
	v_bfe_u32 v11, v6, 24, 1
	v_cndmask_b32_e32 v10, v12, v13, vcc
	v_lshrrev_b64 v[6:7], v11, v[6:7]
; %bb.7:
	s_andn2_saveexec_b64 s[0:1], s[0:1]
; %bb.8:
	v_bfe_u32 v10, v6, 23, 1
; %bb.9:
	s_or_b64 exec, exec, s[0:1]
	v_lshrrev_b64 v[6:7], 20, v[6:7]
	v_cmp_gt_i32_e32 vcc, 16, v10
	s_movk_i32 s0, 0x80
	v_min_i32_e32 v11, 15, v10
	v_cndmask_b32_e32 v7, 0, v7, vcc
	v_cndmask_b32_e32 v6, 7, v6, vcc
	v_and_b32_sdwa v0, v0, s0 dst_sel:DWORD dst_unused:UNUSED_PAD src0_sel:BYTE_3 src1_sel:DWORD
	v_cmp_eq_u64_e64 s[0:1], 0, v[6:7]
	v_lshlrev_b32_e32 v7, 3, v11
	s_movk_i32 s19, 0xf8
	v_cmp_eq_u32_e32 vcc, 0, v10
	v_and_or_b32 v0, v7, s19, v0
	v_and_or_b32 v0, v6, 7, v0
	s_and_b64 s[0:1], vcc, s[0:1]
	v_cndmask_b32_e64 v12, v0, 0, s[0:1]
.LBB1_10:
	s_or_b64 exec, exec, s[24:25]
.LBB1_11:
	s_or_b64 exec, exec, s[22:23]
	v_mul_f32_e32 v0, v18, v1
	v_min_f32_e32 v0, 0x43600000, v0
	v_max_f32_e32 v10, 0xc3600000, v0
	v_and_b32_e32 v0, 0x7f800000, v10
	v_mov_b32_e32 v1, v9
	v_cmp_ne_u64_e32 vcc, s[8:9], v[0:1]
	v_and_b32_e32 v0, 0x7fffffff, v10
	v_cmp_gt_u64_e64 s[0:1], s[20:21], v[0:1]
	v_or_b32_sdwa v13, v10, s17 dst_sel:DWORD dst_unused:UNUSED_PAD src0_sel:BYTE_3 src1_sel:DWORD
	s_and_b64 s[0:1], vcc, s[0:1]
	s_and_saveexec_b64 s[8:9], s[0:1]
	s_cbranch_execz .LBB1_19
; %bb.12:
	v_cmp_ne_u32_e32 vcc, 0, v10
	v_mov_b32_e32 v13, 0
	s_and_saveexec_b64 s[20:21], vcc
	s_cbranch_execz .LBB1_18
; %bb.13:
	v_bfe_u32 v1, v10, 23, 8
	s_movk_i32 s0, 0x78
	v_and_b32_e32 v0, 0x7fffff, v10
	v_sub_u32_e64 v6, s0, v1 clamp
	v_mov_b32_e32 v13, 0x77
	v_cmp_eq_u32_e32 vcc, 0, v1
	v_or_b32_e32 v7, 0x800000, v0
	v_cndmask_b32_e32 v13, v6, v13, vcc
	v_cndmask_b32_e32 v6, v7, v0, vcc
	v_add_u32_e32 v0, 20, v13
	v_add_u32_e32 v11, 0xffffff89, v1
	v_lshlrev_b64 v[0:1], v0, -1
	v_mov_b32_e32 v7, 0
	v_not_b32_e32 v0, v0
	v_add_u32_e32 v14, 19, v13
	v_and_b32_e32 v0, v6, v0
	v_mov_b32_e32 v1, v7
	v_lshlrev_b64 v[14:15], v14, 1
	v_cmp_eq_u64_e64 s[0:1], v[0:1], v[14:15]
	v_lshrrev_b64 v[0:1], v13, v[6:7]
	v_mov_b32_e32 v6, 0xffffff8a
	v_cndmask_b32_e32 v6, v11, v6, vcc
	v_lshrrev_b32_e32 v11, 23, v0
	v_add3_u32 v11, v6, v13, v11
	v_and_b32_e32 v6, 0x100000, v0
	v_cmp_eq_u64_e32 vcc, 0, v[6:7]
	s_and_b64 vcc, vcc, s[0:1]
	v_subbrev_co_u32_e32 v6, vcc, 0, v0, vcc
	v_and_b32_e32 v6, 0xfffff, v6
	v_add_co_u32_e32 v0, vcc, v6, v0
	v_add_u32_e32 v13, -1, v11
	v_addc_co_u32_e32 v1, vcc, 0, v1, vcc
	v_cmp_ne_u32_e32 vcc, 0, v13
                                        ; implicit-def: $vgpr6
	s_and_saveexec_b64 s[0:1], vcc
	s_xor_b64 s[0:1], exec, s[0:1]
; %bb.14:
	v_and_b32_e32 v6, 0x1000000, v0
	v_cmp_eq_u64_e32 vcc, 0, v[6:7]
	v_bfe_u32 v7, v0, 24, 1
	v_cndmask_b32_e32 v6, v11, v13, vcc
	v_lshrrev_b64 v[0:1], v7, v[0:1]
; %bb.15:
	s_andn2_saveexec_b64 s[0:1], s[0:1]
; %bb.16:
	v_bfe_u32 v6, v0, 23, 1
; %bb.17:
	s_or_b64 exec, exec, s[0:1]
	s_movk_i32 s0, 0x80
	v_lshrrev_b64 v[0:1], 20, v[0:1]
	v_cmp_gt_i32_e32 vcc, 16, v6
	v_and_b32_sdwa v7, v10, s0 dst_sel:DWORD dst_unused:UNUSED_PAD src0_sel:BYTE_3 src1_sel:DWORD
	v_min_i32_e32 v10, 15, v6
	v_cndmask_b32_e32 v1, 0, v1, vcc
	v_cndmask_b32_e32 v0, 7, v0, vcc
	v_cmp_eq_u64_e64 s[0:1], 0, v[0:1]
	v_lshlrev_b32_e32 v1, 3, v10
	s_movk_i32 s17, 0xf8
	v_cmp_eq_u32_e32 vcc, 0, v6
	v_and_or_b32 v1, v1, s17, v7
	v_and_or_b32 v0, v0, 7, v1
	s_and_b64 s[0:1], vcc, s[0:1]
	v_cndmask_b32_e64 v13, v0, 0, s[0:1]
.LBB1_18:
	s_or_b64 exec, exec, s[20:21]
.LBB1_19:
	s_or_b64 exec, exec, s[8:9]
	v_mul_f32_e32 v0, v18, v2
	v_min_f32_e32 v0, 0x43600000, v0
	v_max_f32_e32 v2, 0xc3600000, v0
	v_and_b32_e32 v0, 0x7f800000, v2
	v_mov_b32_e32 v1, 0
	s_mov_b64 s[8:9], 0x7f800000
	v_cmp_ne_u64_e32 vcc, s[8:9], v[0:1]
	v_and_b32_e32 v0, 0x7fffffff, v2
	s_mov_b64 s[20:21], 0x43700001
	s_movk_i32 s17, 0x7f
	v_cmp_gt_u64_e64 s[0:1], s[20:21], v[0:1]
	v_or_b32_sdwa v6, v2, s17 dst_sel:DWORD dst_unused:UNUSED_PAD src0_sel:BYTE_3 src1_sel:DWORD
	s_and_b64 s[0:1], vcc, s[0:1]
	s_and_saveexec_b64 s[22:23], s[0:1]
	s_cbranch_execz .LBB1_27
; %bb.20:
	v_cmp_ne_u32_e32 vcc, 0, v2
	v_mov_b32_e32 v6, 0
	s_and_saveexec_b64 s[24:25], vcc
	s_cbranch_execz .LBB1_26
; %bb.21:
	v_bfe_u32 v6, v2, 23, 8
	s_movk_i32 s0, 0x78
	v_and_b32_e32 v0, 0x7fffff, v2
	v_sub_u32_e64 v7, s0, v6 clamp
	v_mov_b32_e32 v11, 0x77
	v_cmp_eq_u32_e32 vcc, 0, v6
	v_or_b32_e32 v10, 0x800000, v0
	v_cndmask_b32_e32 v20, v7, v11, vcc
	v_cndmask_b32_e32 v10, v10, v0, vcc
	v_add_u32_e32 v0, 20, v20
	v_add_u32_e32 v19, 0xffffff89, v6
	v_lshlrev_b64 v[6:7], v0, -1
	v_not_b32_e32 v0, v6
	v_mov_b32_e32 v11, 0
	v_and_b32_e32 v6, v10, v0
	v_add_u32_e32 v0, 19, v20
	v_mov_b32_e32 v7, v11
	v_lshlrev_b64 v[14:15], v0, 1
	v_cmp_eq_u64_e64 s[0:1], v[6:7], v[14:15]
	v_lshrrev_b64 v[6:7], v20, v[10:11]
	v_mov_b32_e32 v0, 0xffffff8a
	v_cndmask_b32_e32 v0, v19, v0, vcc
	v_lshrrev_b32_e32 v10, 23, v6
	v_add3_u32 v14, v0, v20, v10
	v_and_b32_e32 v10, 0x100000, v6
	v_cmp_eq_u64_e32 vcc, 0, v[10:11]
	s_and_b64 vcc, vcc, s[0:1]
	v_subbrev_co_u32_e32 v0, vcc, 0, v6, vcc
	v_and_b32_e32 v0, 0xfffff, v0
	v_add_co_u32_e32 v6, vcc, v0, v6
	v_add_u32_e32 v15, -1, v14
	v_addc_co_u32_e32 v7, vcc, 0, v7, vcc
	v_cmp_ne_u32_e32 vcc, 0, v15
                                        ; implicit-def: $vgpr0
	s_and_saveexec_b64 s[0:1], vcc
	s_xor_b64 s[0:1], exec, s[0:1]
; %bb.22:
	v_and_b32_e32 v10, 0x1000000, v6
	v_cmp_eq_u64_e32 vcc, 0, v[10:11]
	v_bfe_u32 v10, v6, 24, 1
	v_cndmask_b32_e32 v0, v14, v15, vcc
	v_lshrrev_b64 v[6:7], v10, v[6:7]
; %bb.23:
	s_andn2_saveexec_b64 s[0:1], s[0:1]
; %bb.24:
	v_bfe_u32 v0, v6, 23, 1
; %bb.25:
	s_or_b64 exec, exec, s[0:1]
	s_movk_i32 s0, 0x80
	v_lshrrev_b64 v[6:7], 20, v[6:7]
	v_min_i32_e32 v10, 15, v0
	v_cmp_gt_i32_e32 vcc, 16, v0
	v_and_b32_sdwa v2, v2, s0 dst_sel:DWORD dst_unused:UNUSED_PAD src0_sel:BYTE_3 src1_sel:DWORD
	v_cndmask_b32_e32 v7, 0, v7, vcc
	v_cndmask_b32_e32 v6, 7, v6, vcc
	v_cmp_eq_u32_e32 vcc, 0, v0
	v_lshlrev_b32_e32 v0, 3, v10
	s_movk_i32 s19, 0xf8
	v_cmp_eq_u64_e64 s[0:1], 0, v[6:7]
	v_and_or_b32 v0, v0, s19, v2
	v_and_or_b32 v0, v6, 7, v0
	s_and_b64 s[0:1], vcc, s[0:1]
	v_cndmask_b32_e64 v6, v0, 0, s[0:1]
.LBB1_26:
	s_or_b64 exec, exec, s[24:25]
.LBB1_27:
	s_or_b64 exec, exec, s[22:23]
	v_mul_f32_e32 v0, v18, v3
	v_min_f32_e32 v0, 0x43600000, v0
	v_max_f32_e32 v7, 0xc3600000, v0
	v_and_b32_e32 v0, 0x7f800000, v7
	v_cmp_ne_u64_e32 vcc, s[8:9], v[0:1]
	v_and_b32_e32 v0, 0x7fffffff, v7
	v_cmp_gt_u64_e64 s[0:1], s[20:21], v[0:1]
	v_or_b32_sdwa v2, v7, s17 dst_sel:DWORD dst_unused:UNUSED_PAD src0_sel:BYTE_3 src1_sel:DWORD
	s_and_b64 s[0:1], vcc, s[0:1]
	s_and_saveexec_b64 s[8:9], s[0:1]
	s_cbranch_execz .LBB1_35
; %bb.28:
	v_cmp_ne_u32_e32 vcc, 0, v7
	v_mov_b32_e32 v2, 0
	s_and_saveexec_b64 s[20:21], vcc
	s_cbranch_execz .LBB1_34
; %bb.29:
	v_bfe_u32 v1, v7, 23, 8
	s_movk_i32 s0, 0x78
	v_and_b32_e32 v0, 0x7fffff, v7
	v_sub_u32_e64 v2, s0, v1 clamp
	v_mov_b32_e32 v10, 0x77
	v_cmp_eq_u32_e32 vcc, 0, v1
	v_or_b32_e32 v3, 0x800000, v0
	v_cndmask_b32_e32 v15, v2, v10, vcc
	v_cndmask_b32_e32 v2, v3, v0, vcc
	v_add_u32_e32 v0, 20, v15
	v_add_u32_e32 v14, 0xffffff89, v1
	v_lshlrev_b64 v[0:1], v0, -1
	v_mov_b32_e32 v3, 0
	v_not_b32_e32 v0, v0
	v_add_u32_e32 v10, 19, v15
	v_and_b32_e32 v0, v2, v0
	v_mov_b32_e32 v1, v3
	v_lshlrev_b64 v[10:11], v10, 1
	v_cmp_eq_u64_e64 s[0:1], v[0:1], v[10:11]
	v_lshrrev_b64 v[0:1], v15, v[2:3]
	v_mov_b32_e32 v2, 0xffffff8a
	v_cndmask_b32_e32 v2, v14, v2, vcc
	v_lshrrev_b32_e32 v10, 23, v0
	v_add3_u32 v10, v2, v15, v10
	v_and_b32_e32 v2, 0x100000, v0
	v_cmp_eq_u64_e32 vcc, 0, v[2:3]
	s_and_b64 vcc, vcc, s[0:1]
	v_subbrev_co_u32_e32 v2, vcc, 0, v0, vcc
	v_and_b32_e32 v2, 0xfffff, v2
	v_add_co_u32_e32 v0, vcc, v2, v0
	v_add_u32_e32 v11, -1, v10
	v_addc_co_u32_e32 v1, vcc, 0, v1, vcc
	v_cmp_ne_u32_e32 vcc, 0, v11
                                        ; implicit-def: $vgpr2
	s_and_saveexec_b64 s[0:1], vcc
	s_xor_b64 s[0:1], exec, s[0:1]
; %bb.30:
	v_and_b32_e32 v2, 0x1000000, v0
	v_cmp_eq_u64_e32 vcc, 0, v[2:3]
	v_bfe_u32 v3, v0, 24, 1
	v_cndmask_b32_e32 v2, v10, v11, vcc
	v_lshrrev_b64 v[0:1], v3, v[0:1]
; %bb.31:
	s_andn2_saveexec_b64 s[0:1], s[0:1]
; %bb.32:
	v_bfe_u32 v2, v0, 23, 1
; %bb.33:
	s_or_b64 exec, exec, s[0:1]
	s_movk_i32 s0, 0x80
	v_lshrrev_b64 v[0:1], 20, v[0:1]
	v_cmp_gt_i32_e32 vcc, 16, v2
	v_and_b32_sdwa v3, v7, s0 dst_sel:DWORD dst_unused:UNUSED_PAD src0_sel:BYTE_3 src1_sel:DWORD
	v_min_i32_e32 v7, 15, v2
	v_cndmask_b32_e32 v1, 0, v1, vcc
	v_cndmask_b32_e32 v0, 7, v0, vcc
	v_cmp_eq_u64_e64 s[0:1], 0, v[0:1]
	v_lshlrev_b32_e32 v1, 3, v7
	s_movk_i32 s17, 0xf8
	v_cmp_eq_u32_e32 vcc, 0, v2
	v_and_or_b32 v1, v1, s17, v3
	v_and_or_b32 v0, v0, 7, v1
	s_and_b64 s[0:1], vcc, s[0:1]
	v_cndmask_b32_e64 v2, v0, 0, s[0:1]
.LBB1_34:
	s_or_b64 exec, exec, s[20:21]
.LBB1_35:
	s_or_b64 exec, exec, s[8:9]
	v_lshlrev_b32_e32 v0, 16, v6
	v_lshl_or_b32 v0, v2, 24, v0
	v_lshlrev_b32_e32 v1, 8, v13
	v_or3_b32 v2, v0, v1, v12
	v_lshlrev_b64 v[0:1], 2, v[8:9]
	v_add_co_u32_e32 v0, vcc, v16, v0
	v_addc_co_u32_e32 v1, vcc, v17, v1, vcc
	global_store_dword v[0:1], v2, off
.LBB1_36:
	s_or_b64 exec, exec, s[6:7]
	s_cmp_lg_u64 s[10:11], 0
	s_cselect_b64 s[0:1], -1, 0
	v_cmp_eq_u32_e32 vcc, 0, v8
	s_and_b64 s[6:7], s[0:1], vcc
	s_and_saveexec_b64 s[0:1], s[6:7]
	s_cbranch_execz .LBB1_38
; %bb.37:
	v_mad_u64_u32 v[0:1], s[6:7], v5, s16, v[4:5]
	v_mov_b32_e32 v1, 0
	v_lshlrev_b64 v[0:1], 2, v[0:1]
	v_mov_b32_e32 v3, s3
	v_add_co_u32_e32 v2, vcc, s2, v0
	v_addc_co_u32_e32 v3, vcc, v3, v1, vcc
	global_load_dword v2, v[2:3], off
	v_mov_b32_e32 v3, s11
	v_add_co_u32_e32 v0, vcc, s10, v0
	v_addc_co_u32_e32 v1, vcc, v3, v1, vcc
	s_waitcnt vmcnt(0)
	global_store_dword v[0:1], v2, off
.LBB1_38:
	s_or_b64 exec, exec, s[0:1]
                                        ; implicit-def: $vgpr8
                                        ; implicit-def: $vgpr4
                                        ; implicit-def: $vgpr5
                                        ; implicit-def: $vgpr6
                                        ; implicit-def: $vgpr0_vgpr1
                                        ; implicit-def: $vgpr18
                                        ; implicit-def: $vgpr2
                                        ; implicit-def: $vgpr3
                                        ; implicit-def: $vgpr16
                                        ; implicit-def: $vgpr17
.LBB1_39:
	s_andn2_saveexec_b64 s[0:1], s[4:5]
	s_cbranch_execz .LBB1_115
; %bb.40:
	v_mad_u64_u32 v[4:5], s[0:1], v5, s16, v[4:5]
	v_mov_b32_e32 v5, 0
	v_lshlrev_b64 v[10:11], 2, v[4:5]
	v_mov_b32_e32 v5, s15
	v_add_co_u32_e32 v4, vcc, s14, v10
	v_addc_co_u32_e32 v5, vcc, v5, v11, vcc
	global_load_dword v7, v[4:5], off
	v_mov_b32_e32 v5, s3
	v_add_co_u32_e32 v4, vcc, s2, v10
	v_addc_co_u32_e32 v5, vcc, v5, v11, vcc
	global_load_dword v4, v[4:5], off
	v_mov_b32_e32 v5, s13
	v_add_co_u32_e32 v0, vcc, s12, v0
	s_mov_b32 s0, 0x7f800000
	v_addc_co_u32_e32 v1, vcc, v5, v1, vcc
	v_mov_b32_e32 v9, 0xff800000
	s_waitcnt vmcnt(1)
	v_cmp_neq_f32_e64 vcc, |v7|, s0
	v_cndmask_b32_e32 v5, v9, v7, vcc
	v_max_f32_e32 v7, v5, v5
	s_waitcnt vmcnt(0)
	v_cmp_neq_f32_e64 vcc, |v4|, s0
	v_cndmask_b32_e32 v4, v9, v4, vcc
	v_max_f32_e32 v9, v4, v4
	v_max_f32_e32 v19, v7, v9
	v_cmp_neq_f32_e64 s[0:1], |v19|, s0
	s_and_saveexec_b64 s[2:3], s[0:1]
	s_xor_b64 s[2:3], exec, s[2:3]
	s_cbranch_execz .LBB1_78
; %bb.41:
	v_sub_f32_e32 v5, v5, v19
	s_mov_b32 s0, 0x3fb8aa3b
	v_mul_f32_e32 v7, 0x3fb8aa3b, v5
	v_fma_f32 v9, v5, s0, -v7
	v_rndne_f32_e32 v12, v7
	v_fmac_f32_e32 v9, 0x32a5705f, v5
	v_sub_f32_e32 v7, v7, v12
	v_add_f32_e32 v7, v7, v9
	v_exp_f32_e32 v7, v7
	v_cvt_i32_f32_e32 v9, v12
	v_sub_f32_e32 v4, v4, v19
	s_mov_b32 s1, 0xc2ce8ed0
	v_cmp_ngt_f32_e32 vcc, s1, v5
	v_ldexp_f32 v7, v7, v9
	v_mul_f32_e32 v9, 0x3fb8aa3b, v4
	v_fma_f32 v12, v4, s0, -v9
	v_rndne_f32_e32 v13, v9
	v_fmac_f32_e32 v12, 0x32a5705f, v4
	v_sub_f32_e32 v9, v9, v13
	v_add_f32_e32 v9, v9, v12
	v_exp_f32_e32 v9, v9
	v_cvt_i32_f32_e32 v13, v13
	s_mov_b32 s4, 0x42b17218
	v_cndmask_b32_e32 v7, 0, v7, vcc
	v_mov_b32_e32 v14, 0x7f800000
	v_cmp_nlt_f32_e32 vcc, s4, v5
	v_cndmask_b32_e32 v12, v14, v7, vcc
	v_ldexp_f32 v5, v9, v13
	v_cmp_ngt_f32_e32 vcc, s1, v4
	v_cndmask_b32_e32 v5, 0, v5, vcc
	v_cmp_nlt_f32_e32 vcc, s4, v4
	v_cndmask_b32_e32 v13, v14, v5, vcc
	v_add_f32_e32 v20, v12, v13
	v_cmp_gt_u32_e32 vcc, s18, v6
	s_and_saveexec_b64 s[4:5], vcc
	s_cbranch_execz .LBB1_75
; %bb.42:
	v_mov_b32_e32 v9, 0
	v_lshlrev_b64 v[4:5], 4, v[8:9]
	v_add_co_u32_e32 v14, vcc, v0, v4
	v_addc_co_u32_e32 v15, vcc, v1, v5, vcc
	v_add_co_u32_e32 v22, vcc, v2, v4
	v_addc_co_u32_e32 v23, vcc, v3, v5, vcc
	global_load_dwordx4 v[4:7], v[22:23], off
	global_load_dwordx4 v[0:3], v[14:15], off
	v_div_scale_f32 v14, s[0:1], v20, v20, v13
	v_div_scale_f32 v21, s[0:1], v20, v20, v12
	v_rcp_f32_e32 v23, v14
	v_rcp_f32_e32 v24, v21
	v_div_scale_f32 v15, vcc, v13, v20, v13
	v_fma_f32 v26, -v14, v23, 1.0
	v_fma_f32 v28, -v21, v24, 1.0
	v_fmac_f32_e32 v23, v26, v23
	v_div_scale_f32 v22, s[0:1], v12, v20, v12
	v_fmac_f32_e32 v24, v28, v24
	v_mul_f32_e32 v26, v15, v23
	v_mul_f32_e32 v28, v22, v24
	v_fma_f32 v29, -v14, v26, v15
	v_fma_f32 v30, -v21, v28, v22
	v_fmac_f32_e32 v26, v29, v23
	v_fmac_f32_e32 v28, v30, v24
	v_fma_f32 v14, -v14, v26, v15
	v_fma_f32 v15, -v21, v28, v22
	v_div_fmas_f32 v14, v14, v23, v26
	s_mov_b64 vcc, s[0:1]
	v_div_fixup_f32 v21, v14, v20, v13
	v_div_fmas_f32 v13, v15, v24, v28
	v_div_fixup_f32 v22, v13, v20, v12
	s_mov_b64 s[6:7], 0x7f800000
	s_mov_b64 s[8:9], 0x43700001
	v_mov_b32_e32 v25, v9
	v_mov_b32_e32 v27, v9
	s_movk_i32 s16, 0x7f
	s_waitcnt vmcnt(1)
	v_mul_f32_e32 v4, v21, v4
	s_waitcnt vmcnt(0)
	v_fmac_f32_e32 v4, v22, v0
	v_mul_f32_e32 v0, v18, v4
	v_min_f32_e32 v0, 0x43600000, v0
	v_max_f32_e32 v0, 0xc3600000, v0
	v_and_b32_e32 v24, 0x7f800000, v0
	v_and_b32_e32 v26, 0x7fffffff, v0
	v_cmp_ne_u64_e32 vcc, s[6:7], v[24:25]
	v_cmp_gt_u64_e64 s[0:1], s[8:9], v[26:27]
	v_or_b32_sdwa v14, v0, s16 dst_sel:DWORD dst_unused:UNUSED_PAD src0_sel:BYTE_3 src1_sel:DWORD
	s_and_b64 s[0:1], vcc, s[0:1]
	s_and_saveexec_b64 s[12:13], s[0:1]
	s_cbranch_execz .LBB1_50
; %bb.43:
	v_cmp_ne_u32_e32 vcc, 0, v0
	v_mov_b32_e32 v14, v9
	s_and_saveexec_b64 s[14:15], vcc
	s_cbranch_execz .LBB1_49
; %bb.44:
	v_bfe_u32 v12, v0, 23, 8
	s_movk_i32 s0, 0x78
	v_and_b32_e32 v4, 0x7fffff, v0
	v_sub_u32_e64 v13, s0, v12 clamp
	v_mov_b32_e32 v15, 0x77
	v_cmp_eq_u32_e32 vcc, 0, v12
	v_or_b32_e32 v14, 0x800000, v4
	v_cndmask_b32_e32 v26, v13, v15, vcc
	v_cndmask_b32_e32 v14, v14, v4, vcc
	v_add_u32_e32 v4, 20, v26
	v_add_u32_e32 v23, 0xffffff89, v12
	v_lshlrev_b64 v[12:13], v4, -1
	v_not_b32_e32 v4, v12
	v_mov_b32_e32 v15, 0
	v_and_b32_e32 v12, v14, v4
	v_add_u32_e32 v4, 19, v26
	v_mov_b32_e32 v13, v15
	v_lshlrev_b64 v[24:25], v4, 1
	v_cmp_eq_u64_e64 s[0:1], v[12:13], v[24:25]
	v_lshrrev_b64 v[12:13], v26, v[14:15]
	v_mov_b32_e32 v4, 0xffffff8a
	v_cndmask_b32_e32 v4, v23, v4, vcc
	v_lshrrev_b32_e32 v14, 23, v12
	v_add3_u32 v23, v4, v26, v14
	v_and_b32_e32 v14, 0x100000, v12
	v_cmp_eq_u64_e32 vcc, 0, v[14:15]
	s_and_b64 vcc, vcc, s[0:1]
	v_subbrev_co_u32_e32 v4, vcc, 0, v12, vcc
	v_and_b32_e32 v4, 0xfffff, v4
	v_add_co_u32_e32 v12, vcc, v4, v12
	v_add_u32_e32 v24, -1, v23
	v_addc_co_u32_e32 v13, vcc, 0, v13, vcc
	v_cmp_ne_u32_e32 vcc, 0, v24
                                        ; implicit-def: $vgpr4
	s_and_saveexec_b64 s[0:1], vcc
	s_xor_b64 s[0:1], exec, s[0:1]
; %bb.45:
	v_and_b32_e32 v14, 0x1000000, v12
	v_cmp_eq_u64_e32 vcc, 0, v[14:15]
	v_bfe_u32 v14, v12, 24, 1
	v_cndmask_b32_e32 v4, v23, v24, vcc
	v_lshrrev_b64 v[12:13], v14, v[12:13]
; %bb.46:
	s_andn2_saveexec_b64 s[0:1], s[0:1]
; %bb.47:
	v_bfe_u32 v4, v12, 23, 1
; %bb.48:
	s_or_b64 exec, exec, s[0:1]
	s_movk_i32 s0, 0x80
	v_lshrrev_b64 v[12:13], 20, v[12:13]
	v_min_i32_e32 v14, 15, v4
	v_cmp_gt_i32_e32 vcc, 16, v4
	v_and_b32_sdwa v0, v0, s0 dst_sel:DWORD dst_unused:UNUSED_PAD src0_sel:BYTE_3 src1_sel:DWORD
	v_cndmask_b32_e32 v13, 0, v13, vcc
	v_cndmask_b32_e32 v12, 7, v12, vcc
	v_cmp_eq_u32_e32 vcc, 0, v4
	v_lshlrev_b32_e32 v4, 3, v14
	s_movk_i32 s17, 0xf8
	v_cmp_eq_u64_e64 s[0:1], 0, v[12:13]
	v_and_or_b32 v0, v4, s17, v0
	v_and_or_b32 v0, v12, 7, v0
	s_and_b64 s[0:1], vcc, s[0:1]
	v_cndmask_b32_e64 v14, v0, 0, s[0:1]
.LBB1_49:
	s_or_b64 exec, exec, s[14:15]
.LBB1_50:
	s_or_b64 exec, exec, s[12:13]
	v_mul_f32_e32 v0, v21, v5
	v_fmac_f32_e32 v0, v22, v1
	v_mul_f32_e32 v0, v18, v0
	v_min_f32_e32 v0, 0x43600000, v0
	v_max_f32_e32 v12, 0xc3600000, v0
	v_and_b32_e32 v0, 0x7f800000, v12
	v_mov_b32_e32 v1, v9
	v_cmp_ne_u64_e32 vcc, s[6:7], v[0:1]
	v_and_b32_e32 v0, 0x7fffffff, v12
	v_cmp_gt_u64_e64 s[0:1], s[8:9], v[0:1]
	v_or_b32_sdwa v15, v12, s16 dst_sel:DWORD dst_unused:UNUSED_PAD src0_sel:BYTE_3 src1_sel:DWORD
	s_and_b64 s[0:1], vcc, s[0:1]
	s_and_saveexec_b64 s[6:7], s[0:1]
	s_cbranch_execz .LBB1_58
; %bb.51:
	v_cmp_ne_u32_e32 vcc, 0, v12
	v_mov_b32_e32 v15, 0
	s_and_saveexec_b64 s[8:9], vcc
	s_cbranch_execz .LBB1_57
; %bb.52:
	v_bfe_u32 v1, v12, 23, 8
	s_movk_i32 s0, 0x78
	v_and_b32_e32 v0, 0x7fffff, v12
	v_sub_u32_e64 v4, s0, v1 clamp
	v_mov_b32_e32 v15, 0x77
	v_cmp_eq_u32_e32 vcc, 0, v1
	v_or_b32_e32 v5, 0x800000, v0
	v_cndmask_b32_e32 v15, v4, v15, vcc
	v_cndmask_b32_e32 v4, v5, v0, vcc
	v_add_u32_e32 v0, 20, v15
	v_add_u32_e32 v13, 0xffffff89, v1
	v_lshlrev_b64 v[0:1], v0, -1
	v_mov_b32_e32 v5, 0
	v_not_b32_e32 v0, v0
	v_add_u32_e32 v23, 19, v15
	v_and_b32_e32 v0, v4, v0
	v_mov_b32_e32 v1, v5
	v_lshlrev_b64 v[24:25], v23, 1
	v_cmp_eq_u64_e64 s[0:1], v[0:1], v[24:25]
	v_lshrrev_b64 v[0:1], v15, v[4:5]
	v_mov_b32_e32 v4, 0xffffff8a
	v_cndmask_b32_e32 v4, v13, v4, vcc
	v_lshrrev_b32_e32 v13, 23, v0
	v_add3_u32 v13, v4, v15, v13
	v_and_b32_e32 v4, 0x100000, v0
	v_cmp_eq_u64_e32 vcc, 0, v[4:5]
	s_and_b64 vcc, vcc, s[0:1]
	v_subbrev_co_u32_e32 v4, vcc, 0, v0, vcc
	v_and_b32_e32 v4, 0xfffff, v4
	v_add_co_u32_e32 v0, vcc, v4, v0
	v_add_u32_e32 v15, -1, v13
	v_addc_co_u32_e32 v1, vcc, 0, v1, vcc
	v_cmp_ne_u32_e32 vcc, 0, v15
                                        ; implicit-def: $vgpr4
	s_and_saveexec_b64 s[0:1], vcc
	s_xor_b64 s[0:1], exec, s[0:1]
; %bb.53:
	v_and_b32_e32 v4, 0x1000000, v0
	v_cmp_eq_u64_e32 vcc, 0, v[4:5]
	v_bfe_u32 v5, v0, 24, 1
	v_cndmask_b32_e32 v4, v13, v15, vcc
	v_lshrrev_b64 v[0:1], v5, v[0:1]
; %bb.54:
	s_andn2_saveexec_b64 s[0:1], s[0:1]
; %bb.55:
	v_bfe_u32 v4, v0, 23, 1
; %bb.56:
	s_or_b64 exec, exec, s[0:1]
	s_movk_i32 s0, 0x80
	v_lshrrev_b64 v[0:1], 20, v[0:1]
	v_cmp_gt_i32_e32 vcc, 16, v4
	v_and_b32_sdwa v5, v12, s0 dst_sel:DWORD dst_unused:UNUSED_PAD src0_sel:BYTE_3 src1_sel:DWORD
	v_min_i32_e32 v12, 15, v4
	v_cndmask_b32_e32 v1, 0, v1, vcc
	v_cndmask_b32_e32 v0, 7, v0, vcc
	v_cmp_eq_u64_e64 s[0:1], 0, v[0:1]
	v_lshlrev_b32_e32 v1, 3, v12
	s_movk_i32 s12, 0xf8
	v_cmp_eq_u32_e32 vcc, 0, v4
	v_and_or_b32 v1, v1, s12, v5
	v_and_or_b32 v0, v0, 7, v1
	s_and_b64 s[0:1], vcc, s[0:1]
	v_cndmask_b32_e64 v15, v0, 0, s[0:1]
.LBB1_57:
	s_or_b64 exec, exec, s[8:9]
.LBB1_58:
	s_or_b64 exec, exec, s[6:7]
	v_mul_f32_e32 v0, v21, v6
	v_fmac_f32_e32 v0, v22, v2
	v_mul_f32_e32 v0, v18, v0
	v_min_f32_e32 v0, 0x43600000, v0
	v_max_f32_e32 v2, 0xc3600000, v0
	v_and_b32_e32 v0, 0x7f800000, v2
	v_mov_b32_e32 v1, 0
	s_mov_b64 s[6:7], 0x7f800000
	v_cmp_ne_u64_e32 vcc, s[6:7], v[0:1]
	v_and_b32_e32 v0, 0x7fffffff, v2
	s_mov_b64 s[8:9], 0x43700001
	v_cmp_gt_u64_e64 s[0:1], s[8:9], v[0:1]
	v_or_b32_sdwa v4, v2, s16 dst_sel:DWORD dst_unused:UNUSED_PAD src0_sel:BYTE_3 src1_sel:DWORD
	s_and_b64 s[0:1], vcc, s[0:1]
	s_and_saveexec_b64 s[12:13], s[0:1]
	s_cbranch_execz .LBB1_66
; %bb.59:
	v_cmp_ne_u32_e32 vcc, 0, v2
	v_mov_b32_e32 v4, 0
	s_and_saveexec_b64 s[14:15], vcc
	s_cbranch_execz .LBB1_65
; %bb.60:
	v_bfe_u32 v4, v2, 23, 8
	s_movk_i32 s0, 0x78
	v_and_b32_e32 v0, 0x7fffff, v2
	v_sub_u32_e64 v5, s0, v4 clamp
	v_mov_b32_e32 v12, 0x77
	v_cmp_eq_u32_e32 vcc, 0, v4
	v_or_b32_e32 v6, 0x800000, v0
	v_cndmask_b32_e32 v26, v5, v12, vcc
	v_cndmask_b32_e32 v12, v6, v0, vcc
	v_add_u32_e32 v0, 20, v26
	v_add_u32_e32 v23, 0xffffff89, v4
	v_lshlrev_b64 v[4:5], v0, -1
	v_not_b32_e32 v0, v4
	v_mov_b32_e32 v13, 0
	v_and_b32_e32 v4, v12, v0
	v_add_u32_e32 v0, 19, v26
	v_mov_b32_e32 v5, v13
	v_lshlrev_b64 v[24:25], v0, 1
	v_cmp_eq_u64_e64 s[0:1], v[4:5], v[24:25]
	v_lshrrev_b64 v[4:5], v26, v[12:13]
	v_mov_b32_e32 v0, 0xffffff8a
	v_and_b32_e32 v12, 0x100000, v4
	v_cndmask_b32_e32 v0, v23, v0, vcc
	v_cmp_eq_u64_e32 vcc, 0, v[12:13]
	v_lshrrev_b32_e32 v6, 23, v4
	s_and_b64 vcc, vcc, s[0:1]
	v_add3_u32 v6, v0, v26, v6
	v_subbrev_co_u32_e32 v0, vcc, 0, v4, vcc
	v_and_b32_e32 v0, 0xfffff, v0
	v_add_co_u32_e32 v4, vcc, v0, v4
	v_add_u32_e32 v23, -1, v6
	v_addc_co_u32_e32 v5, vcc, 0, v5, vcc
	v_cmp_ne_u32_e32 vcc, 0, v23
                                        ; implicit-def: $vgpr0
	s_and_saveexec_b64 s[0:1], vcc
	s_xor_b64 s[0:1], exec, s[0:1]
; %bb.61:
	v_and_b32_e32 v12, 0x1000000, v4
	v_cmp_eq_u64_e32 vcc, 0, v[12:13]
	v_cndmask_b32_e32 v0, v6, v23, vcc
	v_bfe_u32 v6, v4, 24, 1
	v_lshrrev_b64 v[4:5], v6, v[4:5]
; %bb.62:
	s_andn2_saveexec_b64 s[0:1], s[0:1]
; %bb.63:
	v_bfe_u32 v0, v4, 23, 1
; %bb.64:
	s_or_b64 exec, exec, s[0:1]
	s_movk_i32 s0, 0x80
	v_lshrrev_b64 v[4:5], 20, v[4:5]
	v_min_i32_e32 v6, 15, v0
	v_cmp_gt_i32_e32 vcc, 16, v0
	v_and_b32_sdwa v2, v2, s0 dst_sel:DWORD dst_unused:UNUSED_PAD src0_sel:BYTE_3 src1_sel:DWORD
	v_cndmask_b32_e32 v5, 0, v5, vcc
	v_cndmask_b32_e32 v4, 7, v4, vcc
	v_cmp_eq_u32_e32 vcc, 0, v0
	v_lshlrev_b32_e32 v0, 3, v6
	s_movk_i32 s17, 0xf8
	v_cmp_eq_u64_e64 s[0:1], 0, v[4:5]
	v_and_or_b32 v0, v0, s17, v2
	v_and_or_b32 v0, v4, 7, v0
	s_and_b64 s[0:1], vcc, s[0:1]
	v_cndmask_b32_e64 v4, v0, 0, s[0:1]
.LBB1_65:
	s_or_b64 exec, exec, s[14:15]
.LBB1_66:
	s_or_b64 exec, exec, s[12:13]
	v_mul_f32_e32 v0, v21, v7
	v_fmac_f32_e32 v0, v22, v3
	v_mul_f32_e32 v0, v18, v0
	v_min_f32_e32 v0, 0x43600000, v0
	v_max_f32_e32 v5, 0xc3600000, v0
	v_and_b32_e32 v0, 0x7f800000, v5
	v_cmp_ne_u64_e32 vcc, s[6:7], v[0:1]
	v_and_b32_e32 v0, 0x7fffffff, v5
	v_cmp_gt_u64_e64 s[0:1], s[8:9], v[0:1]
	v_or_b32_sdwa v2, v5, s16 dst_sel:DWORD dst_unused:UNUSED_PAD src0_sel:BYTE_3 src1_sel:DWORD
	s_and_b64 s[0:1], vcc, s[0:1]
	s_and_saveexec_b64 s[6:7], s[0:1]
	s_cbranch_execz .LBB1_74
; %bb.67:
	v_cmp_ne_u32_e32 vcc, 0, v5
	v_mov_b32_e32 v2, 0
	s_and_saveexec_b64 s[8:9], vcc
	s_cbranch_execz .LBB1_73
; %bb.68:
	v_bfe_u32 v1, v5, 23, 8
	s_movk_i32 s0, 0x78
	v_and_b32_e32 v0, 0x7fffff, v5
	v_sub_u32_e64 v2, s0, v1 clamp
	v_mov_b32_e32 v6, 0x77
	v_cmp_eq_u32_e32 vcc, 0, v1
	v_or_b32_e32 v3, 0x800000, v0
	v_cndmask_b32_e32 v13, v2, v6, vcc
	v_cndmask_b32_e32 v2, v3, v0, vcc
	v_add_u32_e32 v0, 20, v13
	v_add_u32_e32 v12, 0xffffff89, v1
	v_lshlrev_b64 v[0:1], v0, -1
	v_mov_b32_e32 v3, 0
	v_not_b32_e32 v0, v0
	v_add_u32_e32 v6, 19, v13
	v_and_b32_e32 v0, v2, v0
	v_mov_b32_e32 v1, v3
	v_lshlrev_b64 v[6:7], v6, 1
	v_cmp_eq_u64_e64 s[0:1], v[0:1], v[6:7]
	v_lshrrev_b64 v[0:1], v13, v[2:3]
	v_mov_b32_e32 v2, 0xffffff8a
	v_cndmask_b32_e32 v2, v12, v2, vcc
	v_lshrrev_b32_e32 v6, 23, v0
	v_add3_u32 v6, v2, v13, v6
	v_and_b32_e32 v2, 0x100000, v0
	v_cmp_eq_u64_e32 vcc, 0, v[2:3]
	s_and_b64 vcc, vcc, s[0:1]
	v_subbrev_co_u32_e32 v2, vcc, 0, v0, vcc
	v_and_b32_e32 v2, 0xfffff, v2
	v_add_co_u32_e32 v0, vcc, v2, v0
	v_add_u32_e32 v7, -1, v6
	v_addc_co_u32_e32 v1, vcc, 0, v1, vcc
	v_cmp_ne_u32_e32 vcc, 0, v7
                                        ; implicit-def: $vgpr2
	s_and_saveexec_b64 s[0:1], vcc
	s_xor_b64 s[0:1], exec, s[0:1]
; %bb.69:
	v_and_b32_e32 v2, 0x1000000, v0
	v_cmp_eq_u64_e32 vcc, 0, v[2:3]
	v_bfe_u32 v3, v0, 24, 1
	v_cndmask_b32_e32 v2, v6, v7, vcc
	v_lshrrev_b64 v[0:1], v3, v[0:1]
; %bb.70:
	s_andn2_saveexec_b64 s[0:1], s[0:1]
; %bb.71:
	v_bfe_u32 v2, v0, 23, 1
; %bb.72:
	s_or_b64 exec, exec, s[0:1]
	s_movk_i32 s0, 0x80
	v_lshrrev_b64 v[0:1], 20, v[0:1]
	v_cmp_gt_i32_e32 vcc, 16, v2
	v_and_b32_sdwa v3, v5, s0 dst_sel:DWORD dst_unused:UNUSED_PAD src0_sel:BYTE_3 src1_sel:DWORD
	v_min_i32_e32 v5, 15, v2
	v_cndmask_b32_e32 v1, 0, v1, vcc
	v_cndmask_b32_e32 v0, 7, v0, vcc
	v_cmp_eq_u64_e64 s[0:1], 0, v[0:1]
	v_lshlrev_b32_e32 v1, 3, v5
	s_movk_i32 s12, 0xf8
	v_cmp_eq_u32_e32 vcc, 0, v2
	v_and_or_b32 v1, v1, s12, v3
	v_and_or_b32 v0, v0, 7, v1
	s_and_b64 s[0:1], vcc, s[0:1]
	v_cndmask_b32_e64 v2, v0, 0, s[0:1]
.LBB1_73:
	s_or_b64 exec, exec, s[8:9]
.LBB1_74:
	s_or_b64 exec, exec, s[6:7]
	v_lshlrev_b32_e32 v0, 16, v4
	v_lshl_or_b32 v0, v2, 24, v0
	v_lshlrev_b32_e32 v1, 8, v15
	v_or3_b32 v2, v0, v1, v14
	v_lshlrev_b64 v[0:1], 2, v[8:9]
	v_add_co_u32_e32 v0, vcc, v16, v0
	v_addc_co_u32_e32 v1, vcc, v17, v1, vcc
	global_store_dword v[0:1], v2, off
.LBB1_75:
	s_or_b64 exec, exec, s[4:5]
	s_cmp_lg_u64 s[10:11], 0
	s_cselect_b64 s[0:1], -1, 0
	v_cmp_eq_u32_e32 vcc, 0, v8
	s_and_b64 s[0:1], s[0:1], vcc
	s_and_saveexec_b64 s[4:5], s[0:1]
	s_cbranch_execz .LBB1_77
; %bb.76:
	s_mov_b32 s0, 0x800000
	v_mov_b32_e32 v0, 0x4f800000
	v_cmp_gt_f32_e32 vcc, s0, v20
	v_cndmask_b32_e32 v0, 1.0, v0, vcc
	v_mul_f32_e32 v0, v20, v0
	v_log_f32_e32 v2, v0
	v_mov_b32_e32 v1, s11
	v_add_co_u32_e64 v0, s[0:1], s10, v10
	v_addc_co_u32_e64 v1, s[0:1], v1, v11, s[0:1]
	s_mov_b32 s0, 0x3f317217
	v_mul_f32_e32 v3, 0x3f317217, v2
	v_fma_f32 v4, v2, s0, -v3
	v_fmac_f32_e32 v4, 0x3377d1cf, v2
	s_mov_b32 s0, 0x7f800000
	v_add_f32_e32 v3, v3, v4
	v_cmp_lt_f32_e64 s[0:1], |v2|, s0
	v_cndmask_b32_e64 v2, v2, v3, s[0:1]
	v_mov_b32_e32 v3, 0x41b17218
	v_cndmask_b32_e32 v3, 0, v3, vcc
	v_sub_f32_e32 v2, v2, v3
	v_add_f32_e32 v2, v19, v2
	global_store_dword v[0:1], v2, off
.LBB1_77:
	s_or_b64 exec, exec, s[4:5]
                                        ; implicit-def: $vgpr19
                                        ; implicit-def: $vgpr10_vgpr11
                                        ; implicit-def: $vgpr0
                                        ; implicit-def: $vgpr1
                                        ; implicit-def: $vgpr8
                                        ; implicit-def: $vgpr6
                                        ; implicit-def: $vgpr18
                                        ; implicit-def: $vgpr16
                                        ; implicit-def: $vgpr17
.LBB1_78:
	s_andn2_saveexec_b64 s[0:1], s[2:3]
	s_cbranch_execz .LBB1_115
; %bb.79:
	v_cmp_gt_u32_e32 vcc, s18, v6
	s_and_saveexec_b64 s[2:3], vcc
	s_cbranch_execz .LBB1_113
; %bb.80:
	v_mov_b32_e32 v9, 0
	v_lshlrev_b64 v[2:3], 4, v[8:9]
	v_add_co_u32_e32 v0, vcc, v0, v2
	v_addc_co_u32_e32 v1, vcc, v1, v3, vcc
	global_load_dwordx4 v[0:3], v[0:1], off
	s_mov_b64 s[4:5], 0x7f800000
	s_mov_b64 s[6:7], 0x43700001
	v_mov_b32_e32 v5, v9
	v_mov_b32_e32 v7, v9
	s_movk_i32 s14, 0x7f
	s_waitcnt vmcnt(0)
	v_mul_f32_e32 v0, v18, v0
	v_min_f32_e32 v0, 0x43600000, v0
	v_max_f32_e32 v0, 0xc3600000, v0
	v_and_b32_e32 v4, 0x7f800000, v0
	v_and_b32_e32 v6, 0x7fffffff, v0
	v_cmp_ne_u64_e32 vcc, s[4:5], v[4:5]
	v_cmp_gt_u64_e64 s[0:1], s[6:7], v[6:7]
	v_or_b32_sdwa v12, v0, s14 dst_sel:DWORD dst_unused:UNUSED_PAD src0_sel:BYTE_3 src1_sel:DWORD
	s_and_b64 s[0:1], vcc, s[0:1]
	s_and_saveexec_b64 s[8:9], s[0:1]
	s_cbranch_execz .LBB1_88
; %bb.81:
	v_cmp_ne_u32_e32 vcc, 0, v0
	v_mov_b32_e32 v12, v9
	s_and_saveexec_b64 s[12:13], vcc
	s_cbranch_execz .LBB1_87
; %bb.82:
	v_bfe_u32 v5, v0, 23, 8
	s_movk_i32 s0, 0x78
	v_and_b32_e32 v4, 0x7fffff, v0
	v_sub_u32_e64 v6, s0, v5 clamp
	v_mov_b32_e32 v12, 0x77
	v_cmp_eq_u32_e32 vcc, 0, v5
	v_or_b32_e32 v7, 0x800000, v4
	v_cndmask_b32_e32 v15, v6, v12, vcc
	v_cndmask_b32_e32 v6, v7, v4, vcc
	v_add_u32_e32 v4, 20, v15
	v_add_u32_e32 v14, 0xffffff89, v5
	v_lshlrev_b64 v[4:5], v4, -1
	v_mov_b32_e32 v7, 0
	v_not_b32_e32 v4, v4
	v_add_u32_e32 v12, 19, v15
	v_and_b32_e32 v4, v6, v4
	v_mov_b32_e32 v5, v7
	v_lshlrev_b64 v[12:13], v12, 1
	v_cmp_eq_u64_e64 s[0:1], v[4:5], v[12:13]
	v_lshrrev_b64 v[4:5], v15, v[6:7]
	v_mov_b32_e32 v6, 0xffffff8a
	v_cndmask_b32_e32 v6, v14, v6, vcc
	v_lshrrev_b32_e32 v12, 23, v4
	v_add3_u32 v12, v6, v15, v12
	v_and_b32_e32 v6, 0x100000, v4
	v_cmp_eq_u64_e32 vcc, 0, v[6:7]
	s_and_b64 vcc, vcc, s[0:1]
	v_subbrev_co_u32_e32 v6, vcc, 0, v4, vcc
	v_and_b32_e32 v6, 0xfffff, v6
	v_add_co_u32_e32 v4, vcc, v6, v4
	v_add_u32_e32 v13, -1, v12
	v_addc_co_u32_e32 v5, vcc, 0, v5, vcc
	v_cmp_ne_u32_e32 vcc, 0, v13
                                        ; implicit-def: $vgpr6
	s_and_saveexec_b64 s[0:1], vcc
	s_xor_b64 s[0:1], exec, s[0:1]
; %bb.83:
	v_and_b32_e32 v6, 0x1000000, v4
	v_cmp_eq_u64_e32 vcc, 0, v[6:7]
	v_bfe_u32 v7, v4, 24, 1
	v_cndmask_b32_e32 v6, v12, v13, vcc
	v_lshrrev_b64 v[4:5], v7, v[4:5]
; %bb.84:
	s_andn2_saveexec_b64 s[0:1], s[0:1]
; %bb.85:
	v_bfe_u32 v6, v4, 23, 1
; %bb.86:
	s_or_b64 exec, exec, s[0:1]
	v_lshrrev_b64 v[4:5], 20, v[4:5]
	v_cmp_gt_i32_e32 vcc, 16, v6
	s_movk_i32 s0, 0x80
	v_min_i32_e32 v7, 15, v6
	v_cndmask_b32_e32 v5, 0, v5, vcc
	v_cndmask_b32_e32 v4, 7, v4, vcc
	v_and_b32_sdwa v0, v0, s0 dst_sel:DWORD dst_unused:UNUSED_PAD src0_sel:BYTE_3 src1_sel:DWORD
	v_cmp_eq_u64_e64 s[0:1], 0, v[4:5]
	v_lshlrev_b32_e32 v5, 3, v7
	s_movk_i32 s15, 0xf8
	v_cmp_eq_u32_e32 vcc, 0, v6
	v_and_or_b32 v0, v5, s15, v0
	v_and_or_b32 v0, v4, 7, v0
	s_and_b64 s[0:1], vcc, s[0:1]
	v_cndmask_b32_e64 v12, v0, 0, s[0:1]
.LBB1_87:
	s_or_b64 exec, exec, s[12:13]
.LBB1_88:
	s_or_b64 exec, exec, s[8:9]
	v_mul_f32_e32 v0, v18, v1
	v_min_f32_e32 v0, 0x43600000, v0
	v_max_f32_e32 v6, 0xc3600000, v0
	v_and_b32_e32 v0, 0x7f800000, v6
	v_mov_b32_e32 v1, v9
	v_cmp_ne_u64_e32 vcc, s[4:5], v[0:1]
	v_and_b32_e32 v0, 0x7fffffff, v6
	v_cmp_gt_u64_e64 s[0:1], s[6:7], v[0:1]
	v_or_b32_sdwa v13, v6, s14 dst_sel:DWORD dst_unused:UNUSED_PAD src0_sel:BYTE_3 src1_sel:DWORD
	s_and_b64 s[0:1], vcc, s[0:1]
	s_and_saveexec_b64 s[4:5], s[0:1]
	s_cbranch_execz .LBB1_96
; %bb.89:
	v_cmp_ne_u32_e32 vcc, 0, v6
	v_mov_b32_e32 v13, 0
	s_and_saveexec_b64 s[6:7], vcc
	s_cbranch_execz .LBB1_95
; %bb.90:
	v_bfe_u32 v1, v6, 23, 8
	s_movk_i32 s0, 0x78
	v_and_b32_e32 v0, 0x7fffff, v6
	v_sub_u32_e64 v4, s0, v1 clamp
	v_mov_b32_e32 v13, 0x77
	v_cmp_eq_u32_e32 vcc, 0, v1
	v_or_b32_e32 v5, 0x800000, v0
	v_cndmask_b32_e32 v13, v4, v13, vcc
	v_cndmask_b32_e32 v4, v5, v0, vcc
	v_add_u32_e32 v0, 20, v13
	v_add_u32_e32 v7, 0xffffff89, v1
	v_lshlrev_b64 v[0:1], v0, -1
	v_mov_b32_e32 v5, 0
	v_not_b32_e32 v0, v0
	v_add_u32_e32 v14, 19, v13
	v_and_b32_e32 v0, v4, v0
	v_mov_b32_e32 v1, v5
	v_lshlrev_b64 v[14:15], v14, 1
	v_cmp_eq_u64_e64 s[0:1], v[0:1], v[14:15]
	v_lshrrev_b64 v[0:1], v13, v[4:5]
	v_mov_b32_e32 v4, 0xffffff8a
	v_cndmask_b32_e32 v4, v7, v4, vcc
	v_lshrrev_b32_e32 v7, 23, v0
	v_add3_u32 v7, v4, v13, v7
	v_and_b32_e32 v4, 0x100000, v0
	v_cmp_eq_u64_e32 vcc, 0, v[4:5]
	s_and_b64 vcc, vcc, s[0:1]
	v_subbrev_co_u32_e32 v4, vcc, 0, v0, vcc
	v_and_b32_e32 v4, 0xfffff, v4
	v_add_co_u32_e32 v0, vcc, v4, v0
	v_add_u32_e32 v13, -1, v7
	v_addc_co_u32_e32 v1, vcc, 0, v1, vcc
	v_cmp_ne_u32_e32 vcc, 0, v13
                                        ; implicit-def: $vgpr4
	s_and_saveexec_b64 s[0:1], vcc
	s_xor_b64 s[0:1], exec, s[0:1]
; %bb.91:
	v_and_b32_e32 v4, 0x1000000, v0
	v_cmp_eq_u64_e32 vcc, 0, v[4:5]
	v_bfe_u32 v5, v0, 24, 1
	v_cndmask_b32_e32 v4, v7, v13, vcc
	v_lshrrev_b64 v[0:1], v5, v[0:1]
; %bb.92:
	s_andn2_saveexec_b64 s[0:1], s[0:1]
; %bb.93:
	v_bfe_u32 v4, v0, 23, 1
; %bb.94:
	s_or_b64 exec, exec, s[0:1]
	s_movk_i32 s0, 0x80
	v_lshrrev_b64 v[0:1], 20, v[0:1]
	v_cmp_gt_i32_e32 vcc, 16, v4
	v_and_b32_sdwa v5, v6, s0 dst_sel:DWORD dst_unused:UNUSED_PAD src0_sel:BYTE_3 src1_sel:DWORD
	v_min_i32_e32 v6, 15, v4
	v_cndmask_b32_e32 v1, 0, v1, vcc
	v_cndmask_b32_e32 v0, 7, v0, vcc
	v_cmp_eq_u64_e64 s[0:1], 0, v[0:1]
	v_lshlrev_b32_e32 v1, 3, v6
	s_movk_i32 s8, 0xf8
	v_cmp_eq_u32_e32 vcc, 0, v4
	v_and_or_b32 v1, v1, s8, v5
	v_and_or_b32 v0, v0, 7, v1
	s_and_b64 s[0:1], vcc, s[0:1]
	v_cndmask_b32_e64 v13, v0, 0, s[0:1]
.LBB1_95:
	s_or_b64 exec, exec, s[6:7]
.LBB1_96:
	s_or_b64 exec, exec, s[4:5]
	v_mul_f32_e32 v0, v18, v2
	v_min_f32_e32 v0, 0x43600000, v0
	v_max_f32_e32 v2, 0xc3600000, v0
	v_and_b32_e32 v0, 0x7f800000, v2
	v_mov_b32_e32 v1, 0
	s_mov_b64 s[4:5], 0x7f800000
	v_cmp_ne_u64_e32 vcc, s[4:5], v[0:1]
	v_and_b32_e32 v0, 0x7fffffff, v2
	s_mov_b64 s[6:7], 0x43700001
	v_cmp_gt_u64_e64 s[0:1], s[6:7], v[0:1]
	v_or_b32_sdwa v4, v2, s14 dst_sel:DWORD dst_unused:UNUSED_PAD src0_sel:BYTE_3 src1_sel:DWORD
	s_and_b64 s[0:1], vcc, s[0:1]
	s_and_saveexec_b64 s[8:9], s[0:1]
	s_cbranch_execz .LBB1_104
; %bb.97:
	v_cmp_ne_u32_e32 vcc, 0, v2
	v_mov_b32_e32 v4, 0
	s_and_saveexec_b64 s[12:13], vcc
	s_cbranch_execz .LBB1_103
; %bb.98:
	v_bfe_u32 v4, v2, 23, 8
	s_movk_i32 s0, 0x78
	v_and_b32_e32 v0, 0x7fffff, v2
	v_sub_u32_e64 v5, s0, v4 clamp
	v_mov_b32_e32 v7, 0x77
	v_cmp_eq_u32_e32 vcc, 0, v4
	v_or_b32_e32 v6, 0x800000, v0
	v_cndmask_b32_e32 v21, v5, v7, vcc
	v_cndmask_b32_e32 v6, v6, v0, vcc
	v_add_u32_e32 v0, 20, v21
	v_add_u32_e32 v20, 0xffffff89, v4
	v_lshlrev_b64 v[4:5], v0, -1
	v_not_b32_e32 v0, v4
	v_mov_b32_e32 v7, 0
	v_and_b32_e32 v4, v6, v0
	v_add_u32_e32 v0, 19, v21
	v_mov_b32_e32 v5, v7
	v_lshlrev_b64 v[14:15], v0, 1
	v_cmp_eq_u64_e64 s[0:1], v[4:5], v[14:15]
	v_lshrrev_b64 v[4:5], v21, v[6:7]
	v_mov_b32_e32 v0, 0xffffff8a
	v_cndmask_b32_e32 v0, v20, v0, vcc
	v_lshrrev_b32_e32 v6, 23, v4
	v_add3_u32 v14, v0, v21, v6
	v_and_b32_e32 v6, 0x100000, v4
	v_cmp_eq_u64_e32 vcc, 0, v[6:7]
	s_and_b64 vcc, vcc, s[0:1]
	v_subbrev_co_u32_e32 v0, vcc, 0, v4, vcc
	v_and_b32_e32 v0, 0xfffff, v0
	v_add_co_u32_e32 v4, vcc, v0, v4
	v_add_u32_e32 v15, -1, v14
	v_addc_co_u32_e32 v5, vcc, 0, v5, vcc
	v_cmp_ne_u32_e32 vcc, 0, v15
                                        ; implicit-def: $vgpr0
	s_and_saveexec_b64 s[0:1], vcc
	s_xor_b64 s[0:1], exec, s[0:1]
; %bb.99:
	v_and_b32_e32 v6, 0x1000000, v4
	v_cmp_eq_u64_e32 vcc, 0, v[6:7]
	v_bfe_u32 v6, v4, 24, 1
	v_cndmask_b32_e32 v0, v14, v15, vcc
	v_lshrrev_b64 v[4:5], v6, v[4:5]
; %bb.100:
	s_andn2_saveexec_b64 s[0:1], s[0:1]
; %bb.101:
	v_bfe_u32 v0, v4, 23, 1
; %bb.102:
	s_or_b64 exec, exec, s[0:1]
	s_movk_i32 s0, 0x80
	v_lshrrev_b64 v[4:5], 20, v[4:5]
	v_min_i32_e32 v6, 15, v0
	v_cmp_gt_i32_e32 vcc, 16, v0
	v_and_b32_sdwa v2, v2, s0 dst_sel:DWORD dst_unused:UNUSED_PAD src0_sel:BYTE_3 src1_sel:DWORD
	v_cndmask_b32_e32 v5, 0, v5, vcc
	v_cndmask_b32_e32 v4, 7, v4, vcc
	v_cmp_eq_u32_e32 vcc, 0, v0
	v_lshlrev_b32_e32 v0, 3, v6
	s_movk_i32 s15, 0xf8
	v_cmp_eq_u64_e64 s[0:1], 0, v[4:5]
	v_and_or_b32 v0, v0, s15, v2
	v_and_or_b32 v0, v4, 7, v0
	s_and_b64 s[0:1], vcc, s[0:1]
	v_cndmask_b32_e64 v4, v0, 0, s[0:1]
.LBB1_103:
	s_or_b64 exec, exec, s[12:13]
.LBB1_104:
	s_or_b64 exec, exec, s[8:9]
	v_mul_f32_e32 v0, v18, v3
	v_min_f32_e32 v0, 0x43600000, v0
	v_max_f32_e32 v5, 0xc3600000, v0
	v_and_b32_e32 v0, 0x7f800000, v5
	v_cmp_ne_u64_e32 vcc, s[4:5], v[0:1]
	v_and_b32_e32 v0, 0x7fffffff, v5
	v_cmp_gt_u64_e64 s[0:1], s[6:7], v[0:1]
	v_or_b32_sdwa v2, v5, s14 dst_sel:DWORD dst_unused:UNUSED_PAD src0_sel:BYTE_3 src1_sel:DWORD
	s_and_b64 s[0:1], vcc, s[0:1]
	s_and_saveexec_b64 s[4:5], s[0:1]
	s_cbranch_execz .LBB1_112
; %bb.105:
	v_cmp_ne_u32_e32 vcc, 0, v5
	v_mov_b32_e32 v2, 0
	s_and_saveexec_b64 s[6:7], vcc
	s_cbranch_execz .LBB1_111
; %bb.106:
	v_bfe_u32 v1, v5, 23, 8
	s_movk_i32 s0, 0x78
	v_and_b32_e32 v0, 0x7fffff, v5
	v_sub_u32_e64 v2, s0, v1 clamp
	v_mov_b32_e32 v6, 0x77
	v_cmp_eq_u32_e32 vcc, 0, v1
	v_or_b32_e32 v3, 0x800000, v0
	v_cndmask_b32_e32 v15, v2, v6, vcc
	v_cndmask_b32_e32 v2, v3, v0, vcc
	v_add_u32_e32 v0, 20, v15
	v_add_u32_e32 v14, 0xffffff89, v1
	v_lshlrev_b64 v[0:1], v0, -1
	v_mov_b32_e32 v3, 0
	v_not_b32_e32 v0, v0
	v_add_u32_e32 v6, 19, v15
	v_and_b32_e32 v0, v2, v0
	v_mov_b32_e32 v1, v3
	v_lshlrev_b64 v[6:7], v6, 1
	v_cmp_eq_u64_e64 s[0:1], v[0:1], v[6:7]
	v_lshrrev_b64 v[0:1], v15, v[2:3]
	v_mov_b32_e32 v2, 0xffffff8a
	v_cndmask_b32_e32 v2, v14, v2, vcc
	v_lshrrev_b32_e32 v6, 23, v0
	v_add3_u32 v6, v2, v15, v6
	v_and_b32_e32 v2, 0x100000, v0
	v_cmp_eq_u64_e32 vcc, 0, v[2:3]
	s_and_b64 vcc, vcc, s[0:1]
	v_subbrev_co_u32_e32 v2, vcc, 0, v0, vcc
	v_and_b32_e32 v2, 0xfffff, v2
	v_add_co_u32_e32 v0, vcc, v2, v0
	v_add_u32_e32 v7, -1, v6
	v_addc_co_u32_e32 v1, vcc, 0, v1, vcc
	v_cmp_ne_u32_e32 vcc, 0, v7
                                        ; implicit-def: $vgpr2
	s_and_saveexec_b64 s[0:1], vcc
	s_xor_b64 s[0:1], exec, s[0:1]
; %bb.107:
	v_and_b32_e32 v2, 0x1000000, v0
	v_cmp_eq_u64_e32 vcc, 0, v[2:3]
	v_bfe_u32 v3, v0, 24, 1
	v_cndmask_b32_e32 v2, v6, v7, vcc
	v_lshrrev_b64 v[0:1], v3, v[0:1]
; %bb.108:
	s_andn2_saveexec_b64 s[0:1], s[0:1]
; %bb.109:
	v_bfe_u32 v2, v0, 23, 1
; %bb.110:
	s_or_b64 exec, exec, s[0:1]
	s_movk_i32 s0, 0x80
	v_lshrrev_b64 v[0:1], 20, v[0:1]
	v_cmp_gt_i32_e32 vcc, 16, v2
	v_and_b32_sdwa v3, v5, s0 dst_sel:DWORD dst_unused:UNUSED_PAD src0_sel:BYTE_3 src1_sel:DWORD
	v_min_i32_e32 v5, 15, v2
	v_cndmask_b32_e32 v1, 0, v1, vcc
	v_cndmask_b32_e32 v0, 7, v0, vcc
	v_cmp_eq_u64_e64 s[0:1], 0, v[0:1]
	v_lshlrev_b32_e32 v1, 3, v5
	s_movk_i32 s8, 0xf8
	v_cmp_eq_u32_e32 vcc, 0, v2
	v_and_or_b32 v1, v1, s8, v3
	v_and_or_b32 v0, v0, 7, v1
	s_and_b64 s[0:1], vcc, s[0:1]
	v_cndmask_b32_e64 v2, v0, 0, s[0:1]
.LBB1_111:
	s_or_b64 exec, exec, s[6:7]
.LBB1_112:
	s_or_b64 exec, exec, s[4:5]
	v_lshlrev_b32_e32 v0, 16, v4
	v_lshl_or_b32 v0, v2, 24, v0
	v_lshlrev_b32_e32 v1, 8, v13
	v_or3_b32 v2, v0, v1, v12
	v_lshlrev_b64 v[0:1], 2, v[8:9]
	v_add_co_u32_e32 v0, vcc, v16, v0
	v_addc_co_u32_e32 v1, vcc, v17, v1, vcc
	global_store_dword v[0:1], v2, off
.LBB1_113:
	s_or_b64 exec, exec, s[2:3]
	s_cmp_lg_u64 s[10:11], 0
	s_cselect_b64 s[0:1], -1, 0
	v_cmp_eq_u32_e32 vcc, 0, v8
	s_and_b64 s[0:1], s[0:1], vcc
	s_and_saveexec_b64 s[2:3], s[0:1]
	s_cbranch_execz .LBB1_115
; %bb.114:
	v_mov_b32_e32 v1, s11
	v_add_co_u32_e32 v0, vcc, s10, v10
	v_addc_co_u32_e32 v1, vcc, v1, v11, vcc
	global_store_dword v[0:1], v19, off
.LBB1_115:
	s_endpgm
	.section	.rodata,"a",@progbits
	.p2align	6, 0x0
	.amdhsa_kernel _ZN4vllm24merge_attn_states_kernelIfN3c1015Float8_e4m3fnuzELj128ELb1EEEvPT0_PfPKT_PKfS8_SA_jjjjjjSA_
		.amdhsa_group_segment_fixed_size 0
		.amdhsa_private_segment_fixed_size 0
		.amdhsa_kernarg_size 80
		.amdhsa_user_sgpr_count 6
		.amdhsa_user_sgpr_private_segment_buffer 1
		.amdhsa_user_sgpr_dispatch_ptr 0
		.amdhsa_user_sgpr_queue_ptr 0
		.amdhsa_user_sgpr_kernarg_segment_ptr 1
		.amdhsa_user_sgpr_dispatch_id 0
		.amdhsa_user_sgpr_flat_scratch_init 0
		.amdhsa_user_sgpr_kernarg_preload_length 0
		.amdhsa_user_sgpr_kernarg_preload_offset 0
		.amdhsa_user_sgpr_private_segment_size 0
		.amdhsa_uses_dynamic_stack 0
		.amdhsa_system_sgpr_private_segment_wavefront_offset 0
		.amdhsa_system_sgpr_workgroup_id_x 1
		.amdhsa_system_sgpr_workgroup_id_y 0
		.amdhsa_system_sgpr_workgroup_id_z 0
		.amdhsa_system_sgpr_workgroup_info 0
		.amdhsa_system_vgpr_workitem_id 0
		.amdhsa_next_free_vgpr 31
		.amdhsa_next_free_sgpr 26
		.amdhsa_accum_offset 32
		.amdhsa_reserve_vcc 1
		.amdhsa_reserve_flat_scratch 0
		.amdhsa_float_round_mode_32 0
		.amdhsa_float_round_mode_16_64 0
		.amdhsa_float_denorm_mode_32 3
		.amdhsa_float_denorm_mode_16_64 3
		.amdhsa_dx10_clamp 1
		.amdhsa_ieee_mode 1
		.amdhsa_fp16_overflow 0
		.amdhsa_tg_split 0
		.amdhsa_exception_fp_ieee_invalid_op 0
		.amdhsa_exception_fp_denorm_src 0
		.amdhsa_exception_fp_ieee_div_zero 0
		.amdhsa_exception_fp_ieee_overflow 0
		.amdhsa_exception_fp_ieee_underflow 0
		.amdhsa_exception_fp_ieee_inexact 0
		.amdhsa_exception_int_div_zero 0
	.end_amdhsa_kernel
	.section	.text._ZN4vllm24merge_attn_states_kernelIfN3c1015Float8_e4m3fnuzELj128ELb1EEEvPT0_PfPKT_PKfS8_SA_jjjjjjSA_,"axG",@progbits,_ZN4vllm24merge_attn_states_kernelIfN3c1015Float8_e4m3fnuzELj128ELb1EEEvPT0_PfPKT_PKfS8_SA_jjjjjjSA_,comdat
.Lfunc_end1:
	.size	_ZN4vllm24merge_attn_states_kernelIfN3c1015Float8_e4m3fnuzELj128ELb1EEEvPT0_PfPKT_PKfS8_SA_jjjjjjSA_, .Lfunc_end1-_ZN4vllm24merge_attn_states_kernelIfN3c1015Float8_e4m3fnuzELj128ELb1EEEvPT0_PfPKT_PKfS8_SA_jjjjjjSA_
                                        ; -- End function
	.section	.AMDGPU.csdata,"",@progbits
; Kernel info:
; codeLenInByte = 6788
; NumSgprs: 30
; NumVgprs: 31
; NumAgprs: 0
; TotalNumVgprs: 31
; ScratchSize: 0
; MemoryBound: 0
; FloatMode: 240
; IeeeMode: 1
; LDSByteSize: 0 bytes/workgroup (compile time only)
; SGPRBlocks: 3
; VGPRBlocks: 3
; NumSGPRsForWavesPerEU: 30
; NumVGPRsForWavesPerEU: 31
; AccumOffset: 32
; Occupancy: 8
; WaveLimiterHint : 0
; COMPUTE_PGM_RSRC2:SCRATCH_EN: 0
; COMPUTE_PGM_RSRC2:USER_SGPR: 6
; COMPUTE_PGM_RSRC2:TRAP_HANDLER: 0
; COMPUTE_PGM_RSRC2:TGID_X_EN: 1
; COMPUTE_PGM_RSRC2:TGID_Y_EN: 0
; COMPUTE_PGM_RSRC2:TGID_Z_EN: 0
; COMPUTE_PGM_RSRC2:TIDIG_COMP_CNT: 0
; COMPUTE_PGM_RSRC3_GFX90A:ACCUM_OFFSET: 7
; COMPUTE_PGM_RSRC3_GFX90A:TG_SPLIT: 0
	.section	.text._ZN4vllm24merge_attn_states_kernelIffLj128ELb0EEEvPT0_PfPKT_PKfS6_S8_jjjjjjS8_,"axG",@progbits,_ZN4vllm24merge_attn_states_kernelIffLj128ELb0EEEvPT0_PfPKT_PKfS6_S8_jjjjjjS8_,comdat
	.protected	_ZN4vllm24merge_attn_states_kernelIffLj128ELb0EEEvPT0_PfPKT_PKfS6_S8_jjjjjjS8_ ; -- Begin function _ZN4vllm24merge_attn_states_kernelIffLj128ELb0EEEvPT0_PfPKT_PKfS6_S8_jjjjjjS8_
	.globl	_ZN4vllm24merge_attn_states_kernelIffLj128ELb0EEEvPT0_PfPKT_PKfS6_S8_jjjjjjS8_
	.p2align	8
	.type	_ZN4vllm24merge_attn_states_kernelIffLj128ELb0EEEvPT0_PfPKT_PKfS6_S8_jjjjjjS8_,@function
_ZN4vllm24merge_attn_states_kernelIffLj128ELb0EEEvPT0_PfPKT_PKfS6_S8_jjjjjjS8_: ; @_ZN4vllm24merge_attn_states_kernelIffLj128ELb0EEEvPT0_PfPKT_PKfS6_S8_jjjjjjS8_
; %bb.0:
	s_load_dwordx4 s[16:19], s[4:5], 0x30
	v_lshl_add_u32 v0, s6, 7, v0
	s_waitcnt lgkmcnt(0)
	s_lshr_b32 s6, s18, 2
	s_mul_i32 s0, s17, s16
	s_mul_i32 s0, s0, s6
	v_cmp_gt_u32_e32 vcc, s0, v0
	s_and_saveexec_b64 s[0:1], vcc
	s_cbranch_execz .LBB2_19
; %bb.1:
	v_cvt_f32_u32_e32 v1, s6
	s_load_dwordx8 s[8:15], s[4:5], 0x0
	s_load_dwordx2 s[20:21], s[4:5], 0x40
	s_load_dwordx4 s[0:3], s[4:5], 0x20
	s_sub_i32 s4, 0, s6
	v_rcp_iflag_f32_e32 v1, v1
	v_cvt_f32_u32_e32 v2, s17
	v_mov_b32_e32 v7, 0
	v_mov_b32_e32 v11, v7
	v_mul_f32_e32 v1, 0x4f7ffffe, v1
	v_cvt_u32_f32_e32 v1, v1
	v_rcp_iflag_f32_e32 v2, v2
	v_mul_lo_u32 v3, s4, v1
	v_mul_hi_u32 v3, v1, v3
	v_add_u32_e32 v1, v1, v3
	v_mul_hi_u32 v1, v0, v1
	v_mul_lo_u32 v3, v1, s6
	v_sub_u32_e32 v3, v0, v3
	v_add_u32_e32 v4, 1, v1
	v_cmp_le_u32_e32 vcc, s6, v3
	v_cndmask_b32_e32 v1, v1, v4, vcc
	v_subrev_u32_e32 v4, s6, v3
	v_cndmask_b32_e32 v3, v3, v4, vcc
	v_add_u32_e32 v4, 1, v1
	v_cmp_le_u32_e32 vcc, s6, v3
	v_cndmask_b32_e32 v4, v1, v4, vcc
	v_mul_f32_e32 v1, 0x4f7ffffe, v2
	v_cvt_u32_f32_e32 v1, v1
	v_mul_lo_u32 v2, v4, s6
	s_sub_i32 s4, 0, s17
	v_sub_u32_e32 v0, v0, v2
	v_mul_lo_u32 v2, s4, v1
	v_mul_hi_u32 v2, v1, v2
	v_add_u32_e32 v1, v1, v2
	v_mul_hi_u32 v1, v4, v1
	v_mul_lo_u32 v2, v1, s17
	v_sub_u32_e32 v2, v4, v2
	v_add_u32_e32 v3, 1, v1
	v_cmp_le_u32_e32 vcc, s17, v2
	v_cndmask_b32_e32 v1, v1, v3, vcc
	v_subrev_u32_e32 v3, s17, v2
	v_cndmask_b32_e32 v2, v2, v3, vcc
	v_add_u32_e32 v3, 1, v1
	v_cmp_le_u32_e32 vcc, s17, v2
	v_cndmask_b32_e32 v2, v1, v3, vcc
	v_mul_lo_u32 v1, v2, s17
	v_mul_lo_u32 v6, v4, s19
	v_sub_u32_e32 v3, v4, v1
	s_waitcnt lgkmcnt(0)
	v_mul_lo_u32 v10, v4, s20
	v_lshlrev_b64 v[4:5], 2, v[6:7]
	v_mov_b32_e32 v6, s1
	v_add_co_u32_e32 v8, vcc, s0, v4
	v_addc_co_u32_e32 v9, vcc, v6, v5, vcc
	v_lshlrev_b64 v[6:7], 2, v[10:11]
	v_mov_b32_e32 v10, s9
	v_add_co_u32_e32 v6, vcc, s8, v6
	v_addc_co_u32_e32 v7, vcc, v10, v7, vcc
	v_lshlrev_b32_e32 v1, 2, v0
	v_cmp_le_u32_e32 vcc, s21, v2
	s_and_saveexec_b64 s[0:1], vcc
	s_xor_b64 s[0:1], exec, s[0:1]
	s_cbranch_execz .LBB2_7
; %bb.2:
	v_cmp_gt_u32_e32 vcc, s18, v1
	s_and_saveexec_b64 s[4:5], vcc
	s_cbranch_execz .LBB2_4
; %bb.3:
	v_mov_b32_e32 v1, 0
	v_lshlrev_b64 v[4:5], 4, v[0:1]
	v_add_co_u32_e32 v8, vcc, v8, v4
	v_addc_co_u32_e32 v9, vcc, v9, v5, vcc
	global_load_dwordx4 v[8:11], v[8:9], off
	v_add_co_u32_e32 v4, vcc, v6, v4
	v_addc_co_u32_e32 v5, vcc, v7, v5, vcc
	s_waitcnt vmcnt(0)
	global_store_dwordx4 v[4:5], v[8:11], off
.LBB2_4:
	s_or_b64 exec, exec, s[4:5]
	s_cmp_lg_u64 s[10:11], 0
	s_cselect_b64 s[4:5], -1, 0
	v_cmp_eq_u32_e32 vcc, 0, v0
	s_and_b64 s[6:7], s[4:5], vcc
	s_and_saveexec_b64 s[4:5], s[6:7]
	s_cbranch_execz .LBB2_6
; %bb.5:
	v_mad_u64_u32 v[0:1], s[6:7], v3, s16, v[2:3]
	v_mov_b32_e32 v1, 0
	v_lshlrev_b64 v[0:1], 2, v[0:1]
	v_mov_b32_e32 v3, s3
	v_add_co_u32_e32 v2, vcc, s2, v0
	v_addc_co_u32_e32 v3, vcc, v3, v1, vcc
	global_load_dword v2, v[2:3], off
	v_mov_b32_e32 v3, s11
	v_add_co_u32_e32 v0, vcc, s10, v0
	v_addc_co_u32_e32 v1, vcc, v3, v1, vcc
	s_waitcnt vmcnt(0)
	global_store_dword v[0:1], v2, off
.LBB2_6:
	s_or_b64 exec, exec, s[4:5]
                                        ; implicit-def: $vgpr0
                                        ; implicit-def: $vgpr2
                                        ; implicit-def: $vgpr3
                                        ; implicit-def: $vgpr1
                                        ; implicit-def: $vgpr4_vgpr5
                                        ; implicit-def: $vgpr8
                                        ; implicit-def: $vgpr9
                                        ; implicit-def: $vgpr6
                                        ; implicit-def: $vgpr7
.LBB2_7:
	s_andn2_saveexec_b64 s[0:1], s[0:1]
	s_cbranch_execz .LBB2_19
; %bb.8:
	v_mad_u64_u32 v[2:3], s[0:1], v3, s16, v[2:3]
	v_mov_b32_e32 v3, 0
	v_lshlrev_b64 v[2:3], 2, v[2:3]
	v_mov_b32_e32 v11, s15
	v_add_co_u32_e32 v10, vcc, s14, v2
	v_addc_co_u32_e32 v11, vcc, v11, v3, vcc
	global_load_dword v12, v[10:11], off
	v_mov_b32_e32 v11, s3
	v_add_co_u32_e32 v10, vcc, s2, v2
	v_addc_co_u32_e32 v11, vcc, v11, v3, vcc
	global_load_dword v11, v[10:11], off
	v_mov_b32_e32 v13, s13
	v_add_co_u32_e32 v10, vcc, s12, v4
	s_mov_b32 s0, 0x7f800000
	v_addc_co_u32_e32 v5, vcc, v13, v5, vcc
	v_mov_b32_e32 v14, 0xff800000
	s_waitcnt vmcnt(1)
	v_cmp_neq_f32_e64 vcc, |v12|, s0
	v_cndmask_b32_e32 v12, v14, v12, vcc
	v_max_f32_e32 v4, v12, v12
	s_waitcnt vmcnt(0)
	v_cmp_neq_f32_e64 vcc, |v11|, s0
	v_cndmask_b32_e32 v11, v14, v11, vcc
	v_max_f32_e32 v13, v11, v11
	v_max_f32_e32 v4, v4, v13
	v_cmp_neq_f32_e64 s[0:1], |v4|, s0
	s_and_saveexec_b64 s[2:3], s[0:1]
	s_xor_b64 s[4:5], exec, s[2:3]
	s_cbranch_execz .LBB2_14
; %bb.9:
	v_sub_f32_e32 v12, v12, v4
	s_mov_b32 s0, 0x3fb8aa3b
	v_mul_f32_e32 v13, 0x3fb8aa3b, v12
	v_fma_f32 v14, v12, s0, -v13
	v_rndne_f32_e32 v15, v13
	v_fmac_f32_e32 v14, 0x32a5705f, v12
	v_sub_f32_e32 v13, v13, v15
	v_add_f32_e32 v13, v13, v14
	v_exp_f32_e32 v13, v13
	v_cvt_i32_f32_e32 v14, v15
	v_sub_f32_e32 v11, v11, v4
	s_mov_b32 s1, 0xc2ce8ed0
	v_cmp_ngt_f32_e32 vcc, s1, v12
	v_ldexp_f32 v13, v13, v14
	v_mul_f32_e32 v14, 0x3fb8aa3b, v11
	v_fma_f32 v15, v11, s0, -v14
	v_rndne_f32_e32 v16, v14
	v_fmac_f32_e32 v15, 0x32a5705f, v11
	v_sub_f32_e32 v14, v14, v16
	v_add_f32_e32 v14, v14, v15
	v_exp_f32_e32 v14, v14
	v_cvt_i32_f32_e32 v15, v16
	s_mov_b32 s2, 0x42b17218
	v_cndmask_b32_e32 v13, 0, v13, vcc
	v_mov_b32_e32 v16, 0x7f800000
	v_cmp_nlt_f32_e32 vcc, s2, v12
	v_cndmask_b32_e32 v12, v16, v13, vcc
	v_ldexp_f32 v13, v14, v15
	v_cmp_ngt_f32_e32 vcc, s1, v11
	v_cndmask_b32_e32 v13, 0, v13, vcc
	v_cmp_nlt_f32_e32 vcc, s2, v11
	v_cndmask_b32_e32 v13, v16, v13, vcc
	v_add_f32_e32 v11, v12, v13
	v_cmp_gt_u32_e32 vcc, s18, v1
	s_and_saveexec_b64 s[6:7], vcc
	s_cbranch_execz .LBB2_11
; %bb.10:
	v_mov_b32_e32 v1, 0
	v_lshlrev_b64 v[22:23], 4, v[0:1]
	v_add_co_u32_e32 v8, vcc, v8, v22
	v_addc_co_u32_e32 v9, vcc, v9, v23, vcc
	global_load_dwordx4 v[14:17], v[8:9], off
	v_add_co_u32_e32 v8, vcc, v10, v22
	v_addc_co_u32_e32 v9, vcc, v5, v23, vcc
	global_load_dwordx4 v[18:21], v[8:9], off
	v_div_scale_f32 v1, s[0:1], v11, v11, v13
	v_div_scale_f32 v8, s[0:1], v11, v11, v12
	v_rcp_f32_e32 v10, v1
	v_rcp_f32_e32 v24, v8
	v_add_co_u32_e64 v22, s[2:3], v6, v22
	v_fma_f32 v6, -v1, v10, 1.0
	v_div_scale_f32 v5, vcc, v13, v11, v13
	v_addc_co_u32_e64 v23, s[2:3], v7, v23, s[2:3]
	v_fma_f32 v7, -v8, v24, 1.0
	v_fmac_f32_e32 v10, v6, v10
	v_div_scale_f32 v9, s[0:1], v12, v11, v12
	v_fmac_f32_e32 v24, v7, v24
	v_mul_f32_e32 v6, v5, v10
	v_mul_f32_e32 v7, v9, v24
	v_fma_f32 v25, -v1, v6, v5
	v_fma_f32 v26, -v8, v7, v9
	v_fmac_f32_e32 v6, v25, v10
	v_fmac_f32_e32 v7, v26, v24
	v_fma_f32 v1, -v1, v6, v5
	v_fma_f32 v5, -v8, v7, v9
	v_div_fmas_f32 v1, v1, v10, v6
	s_mov_b64 vcc, s[0:1]
	v_div_fixup_f32 v6, v1, v11, v13
	v_div_fmas_f32 v1, v5, v24, v7
	v_div_fixup_f32 v8, v1, v11, v12
	s_waitcnt vmcnt(1)
	v_pk_mul_f32 v[12:13], v[6:7], v[14:15] op_sel_hi:[0,1]
	v_pk_mul_f32 v[14:15], v[6:7], v[16:17] op_sel_hi:[0,1]
	s_waitcnt vmcnt(0)
	v_pk_fma_f32 v[6:7], v[8:9], v[18:19], v[12:13] op_sel_hi:[0,1,1]
	v_pk_fma_f32 v[8:9], v[8:9], v[20:21], v[14:15] op_sel_hi:[0,1,1]
	global_store_dwordx4 v[22:23], v[6:9], off
.LBB2_11:
	s_or_b64 exec, exec, s[6:7]
	s_cmp_lg_u64 s[10:11], 0
	s_cselect_b64 s[0:1], -1, 0
	v_cmp_eq_u32_e32 vcc, 0, v0
	s_and_b64 s[0:1], s[0:1], vcc
	s_and_saveexec_b64 s[2:3], s[0:1]
	s_cbranch_execz .LBB2_13
; %bb.12:
	s_mov_b32 s0, 0x800000
	v_mov_b32_e32 v0, 0x4f800000
	v_cmp_gt_f32_e32 vcc, s0, v11
	v_cndmask_b32_e32 v0, 1.0, v0, vcc
	v_mul_f32_e32 v0, v11, v0
	v_log_f32_e32 v5, v0
	v_mov_b32_e32 v1, s11
	v_add_co_u32_e64 v0, s[0:1], s10, v2
	v_addc_co_u32_e64 v1, s[0:1], v1, v3, s[0:1]
	s_mov_b32 s0, 0x3f317217
	v_mul_f32_e32 v2, 0x3f317217, v5
	v_fma_f32 v3, v5, s0, -v2
	v_fmac_f32_e32 v3, 0x3377d1cf, v5
	s_mov_b32 s0, 0x7f800000
	v_add_f32_e32 v2, v2, v3
	v_cmp_lt_f32_e64 s[0:1], |v5|, s0
	v_mov_b32_e32 v3, 0x41b17218
	v_cndmask_b32_e64 v2, v5, v2, s[0:1]
	v_cndmask_b32_e32 v3, 0, v3, vcc
	v_sub_f32_e32 v2, v2, v3
	v_add_f32_e32 v2, v4, v2
	global_store_dword v[0:1], v2, off
.LBB2_13:
	s_or_b64 exec, exec, s[2:3]
                                        ; implicit-def: $vgpr0
                                        ; implicit-def: $vgpr2_vgpr3
                                        ; implicit-def: $vgpr4
                                        ; implicit-def: $vgpr1
                                        ; implicit-def: $vgpr6
                                        ; implicit-def: $vgpr7
                                        ; implicit-def: $vgpr10
                                        ; implicit-def: $vgpr5
.LBB2_14:
	s_andn2_saveexec_b64 s[0:1], s[4:5]
	s_cbranch_execz .LBB2_19
; %bb.15:
	v_cmp_gt_u32_e32 vcc, s18, v1
	s_and_saveexec_b64 s[0:1], vcc
	s_cbranch_execz .LBB2_17
; %bb.16:
	v_mov_b32_e32 v1, 0
	v_lshlrev_b64 v[12:13], 4, v[0:1]
	v_add_co_u32_e32 v8, vcc, v10, v12
	v_addc_co_u32_e32 v9, vcc, v5, v13, vcc
	global_load_dwordx4 v[8:11], v[8:9], off
	v_add_co_u32_e32 v6, vcc, v6, v12
	v_addc_co_u32_e32 v7, vcc, v7, v13, vcc
	s_waitcnt vmcnt(0)
	global_store_dwordx4 v[6:7], v[8:11], off
.LBB2_17:
	s_or_b64 exec, exec, s[0:1]
	s_cmp_lg_u64 s[10:11], 0
	s_cselect_b64 s[0:1], -1, 0
	v_cmp_eq_u32_e32 vcc, 0, v0
	s_and_b64 s[0:1], s[0:1], vcc
	s_and_saveexec_b64 s[2:3], s[0:1]
	s_cbranch_execz .LBB2_19
; %bb.18:
	v_mov_b32_e32 v1, s11
	v_add_co_u32_e32 v0, vcc, s10, v2
	v_addc_co_u32_e32 v1, vcc, v1, v3, vcc
	global_store_dword v[0:1], v4, off
.LBB2_19:
	s_endpgm
	.section	.rodata,"a",@progbits
	.p2align	6, 0x0
	.amdhsa_kernel _ZN4vllm24merge_attn_states_kernelIffLj128ELb0EEEvPT0_PfPKT_PKfS6_S8_jjjjjjS8_
		.amdhsa_group_segment_fixed_size 0
		.amdhsa_private_segment_fixed_size 0
		.amdhsa_kernarg_size 80
		.amdhsa_user_sgpr_count 6
		.amdhsa_user_sgpr_private_segment_buffer 1
		.amdhsa_user_sgpr_dispatch_ptr 0
		.amdhsa_user_sgpr_queue_ptr 0
		.amdhsa_user_sgpr_kernarg_segment_ptr 1
		.amdhsa_user_sgpr_dispatch_id 0
		.amdhsa_user_sgpr_flat_scratch_init 0
		.amdhsa_user_sgpr_kernarg_preload_length 0
		.amdhsa_user_sgpr_kernarg_preload_offset 0
		.amdhsa_user_sgpr_private_segment_size 0
		.amdhsa_uses_dynamic_stack 0
		.amdhsa_system_sgpr_private_segment_wavefront_offset 0
		.amdhsa_system_sgpr_workgroup_id_x 1
		.amdhsa_system_sgpr_workgroup_id_y 0
		.amdhsa_system_sgpr_workgroup_id_z 0
		.amdhsa_system_sgpr_workgroup_info 0
		.amdhsa_system_vgpr_workitem_id 0
		.amdhsa_next_free_vgpr 27
		.amdhsa_next_free_sgpr 22
		.amdhsa_accum_offset 28
		.amdhsa_reserve_vcc 1
		.amdhsa_reserve_flat_scratch 0
		.amdhsa_float_round_mode_32 0
		.amdhsa_float_round_mode_16_64 0
		.amdhsa_float_denorm_mode_32 3
		.amdhsa_float_denorm_mode_16_64 3
		.amdhsa_dx10_clamp 1
		.amdhsa_ieee_mode 1
		.amdhsa_fp16_overflow 0
		.amdhsa_tg_split 0
		.amdhsa_exception_fp_ieee_invalid_op 0
		.amdhsa_exception_fp_denorm_src 0
		.amdhsa_exception_fp_ieee_div_zero 0
		.amdhsa_exception_fp_ieee_overflow 0
		.amdhsa_exception_fp_ieee_underflow 0
		.amdhsa_exception_fp_ieee_inexact 0
		.amdhsa_exception_int_div_zero 0
	.end_amdhsa_kernel
	.section	.text._ZN4vllm24merge_attn_states_kernelIffLj128ELb0EEEvPT0_PfPKT_PKfS6_S8_jjjjjjS8_,"axG",@progbits,_ZN4vllm24merge_attn_states_kernelIffLj128ELb0EEEvPT0_PfPKT_PKfS6_S8_jjjjjjS8_,comdat
.Lfunc_end2:
	.size	_ZN4vllm24merge_attn_states_kernelIffLj128ELb0EEEvPT0_PfPKT_PKfS6_S8_jjjjjjS8_, .Lfunc_end2-_ZN4vllm24merge_attn_states_kernelIffLj128ELb0EEEvPT0_PfPKT_PKfS6_S8_jjjjjjS8_
                                        ; -- End function
	.section	.AMDGPU.csdata,"",@progbits
; Kernel info:
; codeLenInByte = 1428
; NumSgprs: 26
; NumVgprs: 27
; NumAgprs: 0
; TotalNumVgprs: 27
; ScratchSize: 0
; MemoryBound: 1
; FloatMode: 240
; IeeeMode: 1
; LDSByteSize: 0 bytes/workgroup (compile time only)
; SGPRBlocks: 3
; VGPRBlocks: 3
; NumSGPRsForWavesPerEU: 26
; NumVGPRsForWavesPerEU: 27
; AccumOffset: 28
; Occupancy: 8
; WaveLimiterHint : 0
; COMPUTE_PGM_RSRC2:SCRATCH_EN: 0
; COMPUTE_PGM_RSRC2:USER_SGPR: 6
; COMPUTE_PGM_RSRC2:TRAP_HANDLER: 0
; COMPUTE_PGM_RSRC2:TGID_X_EN: 1
; COMPUTE_PGM_RSRC2:TGID_Y_EN: 0
; COMPUTE_PGM_RSRC2:TGID_Z_EN: 0
; COMPUTE_PGM_RSRC2:TIDIG_COMP_CNT: 0
; COMPUTE_PGM_RSRC3_GFX90A:ACCUM_OFFSET: 6
; COMPUTE_PGM_RSRC3_GFX90A:TG_SPLIT: 0
	.section	.text._ZN4vllm24merge_attn_states_kernelItN3c1013Float8_e4m3fnELj128ELb1EEEvPT0_PfPKT_PKfS8_SA_jjjjjjSA_,"axG",@progbits,_ZN4vllm24merge_attn_states_kernelItN3c1013Float8_e4m3fnELj128ELb1EEEvPT0_PfPKT_PKfS8_SA_jjjjjjSA_,comdat
	.protected	_ZN4vllm24merge_attn_states_kernelItN3c1013Float8_e4m3fnELj128ELb1EEEvPT0_PfPKT_PKfS8_SA_jjjjjjSA_ ; -- Begin function _ZN4vllm24merge_attn_states_kernelItN3c1013Float8_e4m3fnELj128ELb1EEEvPT0_PfPKT_PKfS8_SA_jjjjjjSA_
	.globl	_ZN4vllm24merge_attn_states_kernelItN3c1013Float8_e4m3fnELj128ELb1EEEvPT0_PfPKT_PKfS8_SA_jjjjjjSA_
	.p2align	8
	.type	_ZN4vllm24merge_attn_states_kernelItN3c1013Float8_e4m3fnELj128ELb1EEEvPT0_PfPKT_PKfS8_SA_jjjjjjSA_,@function
_ZN4vllm24merge_attn_states_kernelItN3c1013Float8_e4m3fnELj128ELb1EEEvPT0_PfPKT_PKfS8_SA_jjjjjjSA_: ; @_ZN4vllm24merge_attn_states_kernelItN3c1013Float8_e4m3fnELj128ELb1EEEvPT0_PfPKT_PKfS8_SA_jjjjjjSA_
; %bb.0:
	s_load_dwordx4 s[16:19], s[4:5], 0x30
	v_lshl_add_u32 v0, s6, 7, v0
	s_waitcnt lgkmcnt(0)
	s_lshr_b32 s6, s18, 3
	s_mul_i32 s0, s17, s16
	s_mul_i32 s0, s0, s6
	v_cmp_gt_u32_e32 vcc, s0, v0
	s_and_saveexec_b64 s[0:1], vcc
	s_cbranch_execz .LBB3_403
; %bb.1:
	v_cvt_f32_u32_e32 v1, s6
	s_load_dwordx8 s[8:15], s[4:5], 0x0
	v_cvt_f32_u32_e32 v2, s17
	s_load_dwordx4 s[20:23], s[4:5], 0x40
	s_load_dwordx4 s[0:3], s[4:5], 0x20
	v_rcp_iflag_f32_e32 v1, v1
	s_sub_i32 s4, 0, s6
	v_rcp_iflag_f32_e32 v2, v2
	s_waitcnt lgkmcnt(0)
	v_mov_b32_e32 v9, s9
	v_mul_f32_e32 v1, 0x4f7ffffe, v1
	v_cvt_u32_f32_e32 v1, v1
	v_mul_f32_e32 v2, 0x4f7ffffe, v2
	v_cvt_u32_f32_e32 v2, v2
	v_mul_lo_u32 v3, s4, v1
	v_mul_hi_u32 v3, v1, v3
	v_add_u32_e32 v1, v1, v3
	v_mul_hi_u32 v1, v0, v1
	v_mul_lo_u32 v3, v1, s6
	v_sub_u32_e32 v3, v0, v3
	v_add_u32_e32 v4, 1, v1
	v_cmp_le_u32_e32 vcc, s6, v3
	v_cndmask_b32_e32 v1, v1, v4, vcc
	v_subrev_u32_e32 v4, s6, v3
	v_cndmask_b32_e32 v3, v3, v4, vcc
	v_add_u32_e32 v4, 1, v1
	v_cmp_le_u32_e32 vcc, s6, v3
	v_cndmask_b32_e32 v1, v1, v4, vcc
	v_mul_lo_u32 v3, v1, s6
	s_sub_i32 s4, 0, s17
	v_sub_u32_e32 v4, v0, v3
	v_mul_lo_u32 v0, s4, v2
	v_mul_hi_u32 v0, v2, v0
	v_add_u32_e32 v0, v2, v0
	v_mul_hi_u32 v0, v1, v0
	v_mul_lo_u32 v2, v0, s17
	v_sub_u32_e32 v2, v1, v2
	v_add_u32_e32 v3, 1, v0
	v_cmp_le_u32_e32 vcc, s17, v2
	v_cndmask_b32_e32 v0, v0, v3, vcc
	v_subrev_u32_e32 v3, s17, v2
	v_cndmask_b32_e32 v2, v2, v3, vcc
	v_add_u32_e32 v3, 1, v0
	v_cmp_le_u32_e32 vcc, s17, v2
	s_load_dword s4, s[22:23], 0x0
	v_cndmask_b32_e32 v6, v0, v3, vcc
	v_mul_lo_u32 v0, v6, s17
	v_sub_u32_e32 v7, v1, v0
	v_mul_lo_u32 v0, v1, s19
	v_mul_lo_u32 v8, v1, s20
	v_mov_b32_e32 v1, 0
	v_lshlrev_b64 v[0:1], 1, v[0:1]
	v_mov_b32_e32 v3, s1
	v_add_co_u32_e32 v2, vcc, s0, v0
	s_waitcnt lgkmcnt(0)
	v_div_scale_f32 v10, s[0:1], s4, s4, 1.0
	v_rcp_f32_e32 v11, v10
	v_addc_co_u32_e32 v3, vcc, v3, v1, vcc
	v_add_co_u32_e32 v24, vcc, s8, v8
	v_addc_co_u32_e32 v25, vcc, 0, v9, vcc
	v_fma_f32 v8, -v10, v11, 1.0
	v_fmac_f32_e32 v11, v8, v11
	v_div_scale_f32 v8, vcc, 1.0, s4, 1.0
	v_mul_f32_e32 v9, v8, v11
	v_fma_f32 v12, -v10, v9, v8
	v_fmac_f32_e32 v9, v12, v11
	v_fma_f32 v8, -v10, v9, v8
	v_div_fmas_f32 v8, v8, v11, v9
	v_lshlrev_b32_e32 v5, 3, v4
	v_div_fixup_f32 v22, v8, s4, 1.0
	v_cmp_le_u32_e32 vcc, s21, v6
	s_and_saveexec_b64 s[0:1], vcc
	s_xor_b64 s[4:5], exec, s[0:1]
	s_cbranch_execz .LBB3_135
; %bb.2:
	v_cmp_gt_u32_e32 vcc, s18, v5
	s_and_saveexec_b64 s[6:7], vcc
	s_cbranch_execz .LBB3_132
; %bb.3:
	v_mov_b32_e32 v5, 0
	v_lshlrev_b64 v[0:1], 4, v[4:5]
	v_add_co_u32_e32 v0, vcc, v2, v0
	v_addc_co_u32_e32 v1, vcc, v3, v1, vcc
	global_load_dwordx4 v[0:3], v[0:1], off
	s_movk_i32 s8, 0x80
	s_mov_b64 s[0:1], 0x7f800000
	v_mov_b32_e32 v15, v5
	v_mov_b32_e32 v13, v5
	s_waitcnt vmcnt(0)
	v_and_b32_e32 v8, 0xffff, v0
	;;#ASMSTART
	v_cvt_f32_f16 v8, v8;
	;;#ASMEND
	v_mul_f32_e32 v8, v22, v8
	v_min_f32_e32 v8, 0x43e00000, v8
	v_max_f32_e32 v11, 0xc3e00000, v8
	v_and_b32_sdwa v10, v11, s8 dst_sel:DWORD dst_unused:UNUSED_PAD src0_sel:BYTE_3 src1_sel:DWORD
	v_and_b32_e32 v14, 0x7f800000, v11
	v_and_b32_e32 v12, 0x7fffff, v11
	v_or_b32_e32 v8, 0x7e, v10
	v_cmp_ne_u64_e32 vcc, s[0:1], v[14:15]
	s_and_saveexec_b64 s[0:1], vcc
	s_xor_b64 s[8:9], exec, s[0:1]
	s_cbranch_execz .LBB3_17
; %bb.4:
	v_and_b32_e32 v14, 0x7fffffff, v11
	v_mov_b32_e32 v15, v5
	s_mov_b64 s[0:1], 0x43e00001
	v_cmp_gt_u64_e32 vcc, s[0:1], v[14:15]
	s_and_saveexec_b64 s[0:1], vcc
	s_xor_b64 s[20:21], exec, s[0:1]
	s_cbranch_execz .LBB3_16
; %bb.5:
	v_cmp_ne_u32_e32 vcc, 0, v11
	v_pk_mov_b32 v[8:9], 0, 0
	s_and_saveexec_b64 s[22:23], vcc
	s_cbranch_execz .LBB3_15
; %bb.6:
	v_bfe_u32 v8, v11, 23, 8
	s_movk_i32 s0, 0x79
	v_sub_u32_e64 v9, s0, v8 clamp
	v_mov_b32_e32 v14, 0x78
	v_cmp_eq_u32_e32 vcc, 0, v8
	v_cndmask_b32_e32 v17, v9, v14, vcc
	v_add_u32_e32 v16, 0xffffff88, v8
	v_add_u32_e32 v8, 20, v17
	v_or_b32_e32 v11, 0x800000, v12
	v_lshlrev_b64 v[8:9], v8, -1
	v_cndmask_b32_e32 v12, v11, v12, vcc
	v_not_b32_e32 v9, v9
	v_not_b32_e32 v8, v8
	v_add_u32_e32 v11, 19, v17
	v_and_b32_e32 v9, 0, v9
	v_and_b32_e32 v8, v12, v8
	v_lshlrev_b64 v[14:15], v11, 1
	v_cmp_eq_u64_e64 s[0:1], v[8:9], v[14:15]
	v_lshrrev_b64 v[8:9], v17, v[12:13]
	v_mov_b32_e32 v11, 0xffffff89
	v_cndmask_b32_e32 v11, v16, v11, vcc
	v_lshrrev_b32_e32 v12, 23, v8
	v_add3_u32 v14, v11, v17, v12
	v_and_b32_e32 v12, 0x100000, v8
	v_mov_b32_e32 v13, 0
	v_cmp_eq_u64_e32 vcc, 0, v[12:13]
	s_and_b64 vcc, vcc, s[0:1]
	v_subbrev_co_u32_e32 v11, vcc, 0, v8, vcc
	v_and_b32_e32 v11, 0xfffff, v11
	v_add_co_u32_e32 v8, vcc, v11, v8
	v_add_u32_e32 v15, -1, v14
	v_addc_co_u32_e32 v9, vcc, 0, v9, vcc
	v_cmp_ne_u32_e32 vcc, 0, v15
                                        ; implicit-def: $vgpr11
	s_and_saveexec_b64 s[0:1], vcc
	s_xor_b64 s[0:1], exec, s[0:1]
; %bb.7:
	v_and_b32_e32 v12, 0x1000000, v8
	v_cmp_eq_u64_e32 vcc, 0, v[12:13]
	v_bfe_u32 v12, v8, 24, 1
	v_cndmask_b32_e32 v11, v14, v15, vcc
	v_lshrrev_b64 v[8:9], v12, v[8:9]
; %bb.8:
	s_andn2_saveexec_b64 s[0:1], s[0:1]
; %bb.9:
	v_bfe_u32 v11, v8, 23, 1
; %bb.10:
	s_or_b64 exec, exec, s[0:1]
	v_lshrrev_b64 v[8:9], 20, v[8:9]
	v_cmp_gt_i32_e32 vcc, 16, v11
	v_cndmask_b32_e32 v13, 0, v9, vcc
	v_cndmask_b32_e32 v12, 7, v8, vcc
	v_cmp_ne_u32_e32 vcc, 0, v11
	v_cmp_ne_u64_e64 s[0:1], 0, v[12:13]
	s_or_b64 s[0:1], vcc, s[0:1]
                                        ; implicit-def: $vgpr8_vgpr9
	s_and_saveexec_b64 s[24:25], s[0:1]
	s_xor_b64 s[0:1], exec, s[24:25]
; %bb.11:
	v_min_i32_e32 v8, 15, v11
	v_lshl_or_b32 v8, v8, 3, v10
	v_and_or_b32 v8, v12, 7, v8
                                        ; implicit-def: $vgpr10
; %bb.12:
	s_andn2_saveexec_b64 s[0:1], s[0:1]
; %bb.13:
	v_pk_mov_b32 v[8:9], v[10:11], v[10:11] op_sel:[0,1]
; %bb.14:
	s_or_b64 exec, exec, s[0:1]
.LBB3_15:
	s_or_b64 exec, exec, s[22:23]
.LBB3_16:
	s_andn2_saveexec_b64 s[0:1], s[20:21]
	s_or_b64 exec, exec, s[0:1]
                                        ; implicit-def: $vgpr11
                                        ; implicit-def: $vgpr12_vgpr13
.LBB3_17:
	s_andn2_saveexec_b64 s[0:1], s[8:9]
; %bb.18:
	s_movk_i32 s8, 0x7f
	v_or_b32_sdwa v9, v11, s8 dst_sel:DWORD dst_unused:UNUSED_PAD src0_sel:BYTE_3 src1_sel:DWORD
	v_cmp_eq_u64_e32 vcc, 0, v[12:13]
	v_cndmask_b32_e32 v8, v9, v8, vcc
; %bb.19:
	s_or_b64 exec, exec, s[0:1]
	v_lshrrev_b32_e32 v0, 16, v0
	;;#ASMSTART
	v_cvt_f32_f16 v0, v0;
	;;#ASMEND
	v_mul_f32_e32 v0, v22, v0
	v_min_f32_e32 v0, 0x43e00000, v0
	v_max_f32_e32 v9, 0xc3e00000, v0
	v_mov_b32_e32 v13, 0
	s_movk_i32 s0, 0x80
	v_and_b32_sdwa v0, v9, s0 dst_sel:DWORD dst_unused:UNUSED_PAD src0_sel:BYTE_3 src1_sel:DWORD
	v_and_b32_e32 v14, 0x7f800000, v9
	v_mov_b32_e32 v15, v13
	s_mov_b64 s[0:1], 0x7f800000
	v_and_b32_e32 v12, 0x7fffff, v9
	v_or_b32_e32 v10, 0x7e, v0
	v_cmp_ne_u64_e32 vcc, s[0:1], v[14:15]
	s_and_saveexec_b64 s[0:1], vcc
	s_xor_b64 s[8:9], exec, s[0:1]
	s_cbranch_execz .LBB3_33
; %bb.20:
	v_and_b32_e32 v14, 0x7fffffff, v9
	v_mov_b32_e32 v15, v13
	s_mov_b64 s[0:1], 0x43e00001
	v_cmp_gt_u64_e32 vcc, s[0:1], v[14:15]
	s_and_saveexec_b64 s[0:1], vcc
	s_xor_b64 s[20:21], exec, s[0:1]
	s_cbranch_execz .LBB3_32
; %bb.21:
	v_cmp_ne_u32_e32 vcc, 0, v9
	v_pk_mov_b32 v[10:11], 0, 0
	s_and_saveexec_b64 s[22:23], vcc
	s_cbranch_execz .LBB3_31
; %bb.22:
	v_bfe_u32 v9, v9, 23, 8
	s_movk_i32 s0, 0x79
	v_sub_u32_e64 v10, s0, v9 clamp
	v_mov_b32_e32 v14, 0x78
	v_cmp_eq_u32_e32 vcc, 0, v9
	v_add_u32_e32 v16, 0xffffff88, v9
	v_cndmask_b32_e32 v9, v10, v14, vcc
	v_or_b32_e32 v11, 0x800000, v12
	v_add_u32_e32 v10, 20, v9
	v_cndmask_b32_e32 v12, v11, v12, vcc
	v_lshlrev_b64 v[10:11], v10, -1
	v_not_b32_e32 v11, v11
	v_not_b32_e32 v10, v10
	v_add_u32_e32 v14, 19, v9
	v_and_b32_e32 v11, 0, v11
	v_and_b32_e32 v10, v12, v10
	v_lshlrev_b64 v[14:15], v14, 1
	v_cmp_eq_u64_e64 s[0:1], v[10:11], v[14:15]
	v_lshrrev_b64 v[10:11], v9, v[12:13]
	v_mov_b32_e32 v12, 0xffffff89
	v_cndmask_b32_e32 v12, v16, v12, vcc
	v_lshrrev_b32_e32 v13, 23, v10
	v_add3_u32 v14, v12, v9, v13
	v_and_b32_e32 v12, 0x100000, v10
	v_mov_b32_e32 v13, 0
	v_cmp_eq_u64_e32 vcc, 0, v[12:13]
	s_and_b64 vcc, vcc, s[0:1]
	v_subbrev_co_u32_e32 v9, vcc, 0, v10, vcc
	v_and_b32_e32 v9, 0xfffff, v9
	v_add_co_u32_e32 v10, vcc, v9, v10
	v_add_u32_e32 v15, -1, v14
	v_addc_co_u32_e32 v11, vcc, 0, v11, vcc
	v_cmp_ne_u32_e32 vcc, 0, v15
                                        ; implicit-def: $vgpr9
	s_and_saveexec_b64 s[0:1], vcc
	s_xor_b64 s[0:1], exec, s[0:1]
; %bb.23:
	v_and_b32_e32 v12, 0x1000000, v10
	v_cmp_eq_u64_e32 vcc, 0, v[12:13]
	v_bfe_u32 v12, v10, 24, 1
	v_cndmask_b32_e32 v9, v14, v15, vcc
	v_lshrrev_b64 v[10:11], v12, v[10:11]
; %bb.24:
	s_andn2_saveexec_b64 s[0:1], s[0:1]
; %bb.25:
	v_bfe_u32 v9, v10, 23, 1
; %bb.26:
	s_or_b64 exec, exec, s[0:1]
	v_lshrrev_b64 v[10:11], 20, v[10:11]
	v_cmp_gt_i32_e32 vcc, 16, v9
	v_cndmask_b32_e32 v13, 0, v11, vcc
	v_cndmask_b32_e32 v12, 7, v10, vcc
	v_cmp_ne_u32_e32 vcc, 0, v9
	v_cmp_ne_u64_e64 s[0:1], 0, v[12:13]
	s_or_b64 s[0:1], vcc, s[0:1]
                                        ; implicit-def: $vgpr10_vgpr11
	s_and_saveexec_b64 s[24:25], s[0:1]
	s_xor_b64 s[0:1], exec, s[24:25]
; %bb.27:
	v_min_i32_e32 v9, 15, v9
	v_lshl_or_b32 v0, v9, 3, v0
	v_and_or_b32 v10, v12, 7, v0
                                        ; implicit-def: $vgpr0
; %bb.28:
	s_andn2_saveexec_b64 s[0:1], s[0:1]
; %bb.29:
	v_pk_mov_b32 v[10:11], v[0:1], v[0:1] op_sel:[0,1]
; %bb.30:
	s_or_b64 exec, exec, s[0:1]
.LBB3_31:
	s_or_b64 exec, exec, s[22:23]
.LBB3_32:
	s_andn2_saveexec_b64 s[0:1], s[20:21]
	s_or_b64 exec, exec, s[0:1]
                                        ; implicit-def: $vgpr9
                                        ; implicit-def: $vgpr12_vgpr13
.LBB3_33:
	s_andn2_saveexec_b64 s[0:1], s[8:9]
; %bb.34:
	s_movk_i32 s8, 0x7f
	v_or_b32_sdwa v0, v9, s8 dst_sel:DWORD dst_unused:UNUSED_PAD src0_sel:BYTE_3 src1_sel:DWORD
	v_cmp_eq_u64_e32 vcc, 0, v[12:13]
	v_cndmask_b32_e32 v10, v0, v10, vcc
; %bb.35:
	s_or_b64 exec, exec, s[0:1]
	v_and_b32_e32 v0, 0xffff, v1
	;;#ASMSTART
	v_cvt_f32_f16 v0, v0;
	;;#ASMEND
	v_mul_f32_e32 v0, v22, v0
	v_min_f32_e32 v0, 0x43e00000, v0
	v_max_f32_e32 v9, 0xc3e00000, v0
	v_mov_b32_e32 v15, 0
	s_movk_i32 s0, 0x80
	v_and_b32_sdwa v0, v9, s0 dst_sel:DWORD dst_unused:UNUSED_PAD src0_sel:BYTE_3 src1_sel:DWORD
	v_and_b32_e32 v16, 0x7f800000, v9
	v_mov_b32_e32 v17, v15
	s_mov_b64 s[0:1], 0x7f800000
	v_and_b32_e32 v14, 0x7fffff, v9
	v_or_b32_e32 v12, 0x7e, v0
	v_cmp_ne_u64_e32 vcc, s[0:1], v[16:17]
	s_and_saveexec_b64 s[0:1], vcc
	s_xor_b64 s[8:9], exec, s[0:1]
	s_cbranch_execz .LBB3_49
; %bb.36:
	v_and_b32_e32 v16, 0x7fffffff, v9
	v_mov_b32_e32 v17, v15
	s_mov_b64 s[0:1], 0x43e00001
	v_cmp_gt_u64_e32 vcc, s[0:1], v[16:17]
	s_and_saveexec_b64 s[0:1], vcc
	s_xor_b64 s[20:21], exec, s[0:1]
	s_cbranch_execz .LBB3_48
; %bb.37:
	v_cmp_ne_u32_e32 vcc, 0, v9
	v_pk_mov_b32 v[12:13], 0, 0
	s_and_saveexec_b64 s[22:23], vcc
	s_cbranch_execz .LBB3_47
; %bb.38:
	v_bfe_u32 v9, v9, 23, 8
	s_movk_i32 s0, 0x79
	v_sub_u32_e64 v11, s0, v9 clamp
	v_mov_b32_e32 v13, 0x78
	v_cmp_eq_u32_e32 vcc, 0, v9
	v_add_u32_e32 v18, 0xffffff88, v9
	v_cndmask_b32_e32 v9, v11, v13, vcc
	v_or_b32_e32 v12, 0x800000, v14
	v_add_u32_e32 v11, 20, v9
	v_cndmask_b32_e32 v14, v12, v14, vcc
	v_lshlrev_b64 v[12:13], v11, -1
	v_not_b32_e32 v11, v13
	v_not_b32_e32 v12, v12
	v_and_b32_e32 v13, 0, v11
	v_add_u32_e32 v11, 19, v9
	v_and_b32_e32 v12, v14, v12
	v_lshlrev_b64 v[16:17], v11, 1
	v_cmp_eq_u64_e64 s[0:1], v[12:13], v[16:17]
	v_lshrrev_b64 v[12:13], v9, v[14:15]
	v_mov_b32_e32 v11, 0xffffff89
	v_cndmask_b32_e32 v11, v18, v11, vcc
	v_lshrrev_b32_e32 v14, 23, v12
	v_add3_u32 v11, v11, v9, v14
	v_and_b32_e32 v14, 0x100000, v12
	v_mov_b32_e32 v15, 0
	v_cmp_eq_u64_e32 vcc, 0, v[14:15]
	s_and_b64 vcc, vcc, s[0:1]
	v_subbrev_co_u32_e32 v9, vcc, 0, v12, vcc
	v_and_b32_e32 v9, 0xfffff, v9
	v_add_co_u32_e32 v12, vcc, v9, v12
	v_add_u32_e32 v16, -1, v11
	v_addc_co_u32_e32 v13, vcc, 0, v13, vcc
	v_cmp_ne_u32_e32 vcc, 0, v16
                                        ; implicit-def: $vgpr9
	s_and_saveexec_b64 s[0:1], vcc
	s_xor_b64 s[0:1], exec, s[0:1]
; %bb.39:
	v_and_b32_e32 v14, 0x1000000, v12
	v_cmp_eq_u64_e32 vcc, 0, v[14:15]
	v_cndmask_b32_e32 v9, v11, v16, vcc
	v_bfe_u32 v11, v12, 24, 1
	v_lshrrev_b64 v[12:13], v11, v[12:13]
; %bb.40:
	s_andn2_saveexec_b64 s[0:1], s[0:1]
; %bb.41:
	v_bfe_u32 v9, v12, 23, 1
; %bb.42:
	s_or_b64 exec, exec, s[0:1]
	v_lshrrev_b64 v[12:13], 20, v[12:13]
	v_cmp_gt_i32_e32 vcc, 16, v9
	v_cndmask_b32_e32 v15, 0, v13, vcc
	v_cndmask_b32_e32 v14, 7, v12, vcc
	v_cmp_ne_u32_e32 vcc, 0, v9
	v_cmp_ne_u64_e64 s[0:1], 0, v[14:15]
	s_or_b64 s[0:1], vcc, s[0:1]
                                        ; implicit-def: $vgpr12_vgpr13
	s_and_saveexec_b64 s[24:25], s[0:1]
	s_xor_b64 s[0:1], exec, s[24:25]
; %bb.43:
	v_min_i32_e32 v9, 15, v9
	v_lshl_or_b32 v0, v9, 3, v0
	v_and_or_b32 v12, v14, 7, v0
                                        ; implicit-def: $vgpr0
; %bb.44:
	s_andn2_saveexec_b64 s[0:1], s[0:1]
; %bb.45:
	v_pk_mov_b32 v[12:13], v[0:1], v[0:1] op_sel:[0,1]
; %bb.46:
	s_or_b64 exec, exec, s[0:1]
.LBB3_47:
	s_or_b64 exec, exec, s[22:23]
.LBB3_48:
	s_andn2_saveexec_b64 s[0:1], s[20:21]
	s_or_b64 exec, exec, s[0:1]
                                        ; implicit-def: $vgpr9
                                        ; implicit-def: $vgpr14_vgpr15
.LBB3_49:
	s_andn2_saveexec_b64 s[0:1], s[8:9]
; %bb.50:
	s_movk_i32 s8, 0x7f
	v_or_b32_sdwa v0, v9, s8 dst_sel:DWORD dst_unused:UNUSED_PAD src0_sel:BYTE_3 src1_sel:DWORD
	v_cmp_eq_u64_e32 vcc, 0, v[14:15]
	v_cndmask_b32_e32 v12, v0, v12, vcc
; %bb.51:
	s_or_b64 exec, exec, s[0:1]
	v_lshrrev_b32_e32 v0, 16, v1
	;;#ASMSTART
	v_cvt_f32_f16 v0, v0;
	;;#ASMEND
	v_mul_f32_e32 v0, v22, v0
	v_min_f32_e32 v0, 0x43e00000, v0
	v_max_f32_e32 v9, 0xc3e00000, v0
	v_mov_b32_e32 v17, 0
	s_movk_i32 s0, 0x80
	v_and_b32_sdwa v14, v9, s0 dst_sel:DWORD dst_unused:UNUSED_PAD src0_sel:BYTE_3 src1_sel:DWORD
	v_and_b32_e32 v18, 0x7f800000, v9
	v_mov_b32_e32 v19, v17
	s_mov_b64 s[0:1], 0x7f800000
	v_and_b32_e32 v16, 0x7fffff, v9
	v_or_b32_e32 v0, 0x7e, v14
	v_cmp_ne_u64_e32 vcc, s[0:1], v[18:19]
	s_and_saveexec_b64 s[0:1], vcc
	s_xor_b64 s[8:9], exec, s[0:1]
	s_cbranch_execz .LBB3_65
; %bb.52:
	v_and_b32_e32 v18, 0x7fffffff, v9
	v_mov_b32_e32 v19, v17
	s_mov_b64 s[0:1], 0x43e00001
	v_cmp_gt_u64_e32 vcc, s[0:1], v[18:19]
	s_and_saveexec_b64 s[0:1], vcc
	s_xor_b64 s[20:21], exec, s[0:1]
	s_cbranch_execz .LBB3_64
; %bb.53:
	v_cmp_ne_u32_e32 vcc, 0, v9
	v_pk_mov_b32 v[0:1], 0, 0
	s_and_saveexec_b64 s[22:23], vcc
	s_cbranch_execz .LBB3_63
; %bb.54:
	v_bfe_u32 v0, v9, 23, 8
	s_movk_i32 s0, 0x79
	v_sub_u32_e64 v1, s0, v0 clamp
	v_mov_b32_e32 v13, 0x78
	v_cmp_eq_u32_e32 vcc, 0, v0
	v_cndmask_b32_e32 v13, v1, v13, vcc
	v_add_u32_e32 v11, 0xffffff88, v0
	v_add_u32_e32 v0, 20, v13
	v_or_b32_e32 v9, 0x800000, v16
	v_lshlrev_b64 v[0:1], v0, -1
	v_cndmask_b32_e32 v16, v9, v16, vcc
	v_not_b32_e32 v1, v1
	v_not_b32_e32 v0, v0
	v_add_u32_e32 v9, 19, v13
	v_and_b32_e32 v1, 0, v1
	v_and_b32_e32 v0, v16, v0
	v_lshlrev_b64 v[18:19], v9, 1
	v_cmp_eq_u64_e64 s[0:1], v[0:1], v[18:19]
	v_lshrrev_b64 v[0:1], v13, v[16:17]
	v_mov_b32_e32 v9, 0xffffff89
	v_and_b32_e32 v16, 0x100000, v0
	v_mov_b32_e32 v17, 0
	v_cndmask_b32_e32 v9, v11, v9, vcc
	v_cmp_eq_u64_e32 vcc, 0, v[16:17]
	v_lshrrev_b32_e32 v11, 23, v0
	s_and_b64 vcc, vcc, s[0:1]
	v_add3_u32 v11, v9, v13, v11
	v_subbrev_co_u32_e32 v9, vcc, 0, v0, vcc
	v_and_b32_e32 v9, 0xfffff, v9
	v_add_co_u32_e32 v0, vcc, v9, v0
	v_add_u32_e32 v13, -1, v11
	v_addc_co_u32_e32 v1, vcc, 0, v1, vcc
	v_cmp_ne_u32_e32 vcc, 0, v13
                                        ; implicit-def: $vgpr9
	s_and_saveexec_b64 s[0:1], vcc
	s_xor_b64 s[0:1], exec, s[0:1]
; %bb.55:
	v_and_b32_e32 v16, 0x1000000, v0
	v_cmp_eq_u64_e32 vcc, 0, v[16:17]
	v_cndmask_b32_e32 v9, v11, v13, vcc
	v_bfe_u32 v11, v0, 24, 1
	v_lshrrev_b64 v[0:1], v11, v[0:1]
; %bb.56:
	s_andn2_saveexec_b64 s[0:1], s[0:1]
; %bb.57:
	v_bfe_u32 v9, v0, 23, 1
; %bb.58:
	s_or_b64 exec, exec, s[0:1]
	v_lshrrev_b64 v[0:1], 20, v[0:1]
	v_cmp_gt_i32_e32 vcc, 16, v9
	v_cndmask_b32_e32 v17, 0, v1, vcc
	v_cndmask_b32_e32 v16, 7, v0, vcc
	v_cmp_ne_u32_e32 vcc, 0, v9
	v_cmp_ne_u64_e64 s[0:1], 0, v[16:17]
	s_or_b64 s[0:1], vcc, s[0:1]
                                        ; implicit-def: $vgpr0_vgpr1
	s_and_saveexec_b64 s[24:25], s[0:1]
	s_xor_b64 s[0:1], exec, s[24:25]
; %bb.59:
	v_min_i32_e32 v0, 15, v9
	v_lshl_or_b32 v0, v0, 3, v14
	v_and_or_b32 v0, v16, 7, v0
                                        ; implicit-def: $vgpr14
; %bb.60:
	s_andn2_saveexec_b64 s[0:1], s[0:1]
; %bb.61:
	v_pk_mov_b32 v[0:1], v[14:15], v[14:15] op_sel:[0,1]
; %bb.62:
	s_or_b64 exec, exec, s[0:1]
.LBB3_63:
	s_or_b64 exec, exec, s[22:23]
.LBB3_64:
	s_andn2_saveexec_b64 s[0:1], s[20:21]
	s_or_b64 exec, exec, s[0:1]
                                        ; implicit-def: $vgpr9
                                        ; implicit-def: $vgpr16_vgpr17
.LBB3_65:
	s_andn2_saveexec_b64 s[0:1], s[8:9]
; %bb.66:
	s_movk_i32 s8, 0x7f
	v_or_b32_sdwa v1, v9, s8 dst_sel:DWORD dst_unused:UNUSED_PAD src0_sel:BYTE_3 src1_sel:DWORD
	v_cmp_eq_u64_e32 vcc, 0, v[16:17]
	v_cndmask_b32_e32 v0, v1, v0, vcc
; %bb.67:
	s_or_b64 exec, exec, s[0:1]
	v_and_b32_e32 v1, 0xffff, v2
	;;#ASMSTART
	v_cvt_f32_f16 v1, v1;
	;;#ASMEND
	v_mul_f32_e32 v1, v22, v1
	v_min_f32_e32 v1, 0x43e00000, v1
	v_max_f32_e32 v1, 0xc3e00000, v1
	v_mov_b32_e32 v19, 0
	s_movk_i32 s0, 0x80
	v_and_b32_sdwa v16, v1, s0 dst_sel:DWORD dst_unused:UNUSED_PAD src0_sel:BYTE_3 src1_sel:DWORD
	v_and_b32_e32 v20, 0x7f800000, v1
	v_mov_b32_e32 v21, v19
	s_mov_b64 s[0:1], 0x7f800000
	v_and_b32_e32 v18, 0x7fffff, v1
	v_or_b32_e32 v14, 0x7e, v16
	v_cmp_ne_u64_e32 vcc, s[0:1], v[20:21]
	s_and_saveexec_b64 s[0:1], vcc
	s_xor_b64 s[8:9], exec, s[0:1]
	s_cbranch_execz .LBB3_81
; %bb.68:
	v_and_b32_e32 v20, 0x7fffffff, v1
	v_mov_b32_e32 v21, v19
	s_mov_b64 s[0:1], 0x43e00001
	v_cmp_gt_u64_e32 vcc, s[0:1], v[20:21]
	s_and_saveexec_b64 s[0:1], vcc
	s_xor_b64 s[20:21], exec, s[0:1]
	s_cbranch_execz .LBB3_80
; %bb.69:
	v_cmp_ne_u32_e32 vcc, 0, v1
	v_pk_mov_b32 v[14:15], 0, 0
	s_and_saveexec_b64 s[22:23], vcc
	s_cbranch_execz .LBB3_79
; %bb.70:
	v_bfe_u32 v1, v1, 23, 8
	s_movk_i32 s0, 0x79
	v_sub_u32_e64 v9, s0, v1 clamp
	v_mov_b32_e32 v14, 0x78
	v_cmp_eq_u32_e32 vcc, 0, v1
	v_add_u32_e32 v13, 0xffffff88, v1
	v_cndmask_b32_e32 v1, v9, v14, vcc
	v_add_u32_e32 v9, 20, v1
	v_lshlrev_b64 v[14:15], v9, -1
	v_or_b32_e32 v11, 0x800000, v18
	v_not_b32_e32 v9, v15
	v_cndmask_b32_e32 v18, v11, v18, vcc
	v_not_b32_e32 v11, v14
	v_and_b32_e32 v15, 0, v9
	v_add_u32_e32 v9, 19, v1
	v_and_b32_e32 v14, v18, v11
	v_lshlrev_b64 v[20:21], v9, 1
	v_cmp_eq_u64_e64 s[0:1], v[14:15], v[20:21]
	v_lshrrev_b64 v[14:15], v1, v[18:19]
	v_mov_b32_e32 v9, 0xffffff89
	v_and_b32_e32 v18, 0x100000, v14
	v_mov_b32_e32 v19, 0
	v_cndmask_b32_e32 v9, v13, v9, vcc
	v_cmp_eq_u64_e32 vcc, 0, v[18:19]
	v_lshrrev_b32_e32 v11, 23, v14
	s_and_b64 vcc, vcc, s[0:1]
	v_add3_u32 v9, v9, v1, v11
	v_subbrev_co_u32_e32 v1, vcc, 0, v14, vcc
	v_and_b32_e32 v1, 0xfffff, v1
	v_add_co_u32_e32 v14, vcc, v1, v14
	v_add_u32_e32 v11, -1, v9
	v_addc_co_u32_e32 v15, vcc, 0, v15, vcc
	v_cmp_ne_u32_e32 vcc, 0, v11
                                        ; implicit-def: $vgpr1
	s_and_saveexec_b64 s[0:1], vcc
	s_xor_b64 s[0:1], exec, s[0:1]
; %bb.71:
	v_and_b32_e32 v18, 0x1000000, v14
	v_cmp_eq_u64_e32 vcc, 0, v[18:19]
	v_cndmask_b32_e32 v1, v9, v11, vcc
	v_bfe_u32 v9, v14, 24, 1
	v_lshrrev_b64 v[14:15], v9, v[14:15]
; %bb.72:
	s_andn2_saveexec_b64 s[0:1], s[0:1]
; %bb.73:
	v_bfe_u32 v1, v14, 23, 1
; %bb.74:
	s_or_b64 exec, exec, s[0:1]
	v_lshrrev_b64 v[14:15], 20, v[14:15]
	v_cmp_gt_i32_e32 vcc, 16, v1
	v_cndmask_b32_e32 v19, 0, v15, vcc
	v_cndmask_b32_e32 v18, 7, v14, vcc
	v_cmp_ne_u32_e32 vcc, 0, v1
	v_cmp_ne_u64_e64 s[0:1], 0, v[18:19]
	s_or_b64 s[0:1], vcc, s[0:1]
                                        ; implicit-def: $vgpr14_vgpr15
	s_and_saveexec_b64 s[24:25], s[0:1]
	s_xor_b64 s[0:1], exec, s[24:25]
; %bb.75:
	v_min_i32_e32 v1, 15, v1
	v_lshl_or_b32 v1, v1, 3, v16
	v_and_or_b32 v14, v18, 7, v1
                                        ; implicit-def: $vgpr16
; %bb.76:
	s_andn2_saveexec_b64 s[0:1], s[0:1]
; %bb.77:
	v_pk_mov_b32 v[14:15], v[16:17], v[16:17] op_sel:[0,1]
; %bb.78:
	s_or_b64 exec, exec, s[0:1]
.LBB3_79:
	s_or_b64 exec, exec, s[22:23]
.LBB3_80:
	s_andn2_saveexec_b64 s[0:1], s[20:21]
	s_or_b64 exec, exec, s[0:1]
                                        ; implicit-def: $vgpr1
                                        ; implicit-def: $vgpr18_vgpr19
.LBB3_81:
	s_andn2_saveexec_b64 s[0:1], s[8:9]
; %bb.82:
	s_movk_i32 s8, 0x7f
	v_or_b32_sdwa v1, v1, s8 dst_sel:DWORD dst_unused:UNUSED_PAD src0_sel:BYTE_3 src1_sel:DWORD
	v_cmp_eq_u64_e32 vcc, 0, v[18:19]
	v_cndmask_b32_e32 v14, v1, v14, vcc
; %bb.83:
	s_or_b64 exec, exec, s[0:1]
	v_lshrrev_b32_e32 v1, 16, v2
	;;#ASMSTART
	v_cvt_f32_f16 v1, v1;
	;;#ASMEND
	v_mul_f32_e32 v1, v22, v1
	v_min_f32_e32 v1, 0x43e00000, v1
	v_max_f32_e32 v1, 0xc3e00000, v1
	v_mov_b32_e32 v19, 0
	s_movk_i32 s0, 0x80
	v_and_b32_sdwa v2, v1, s0 dst_sel:DWORD dst_unused:UNUSED_PAD src0_sel:BYTE_3 src1_sel:DWORD
	v_and_b32_e32 v20, 0x7f800000, v1
	v_mov_b32_e32 v21, v19
	s_mov_b64 s[0:1], 0x7f800000
	v_and_b32_e32 v18, 0x7fffff, v1
	v_or_b32_e32 v16, 0x7e, v2
	v_cmp_ne_u64_e32 vcc, s[0:1], v[20:21]
	s_and_saveexec_b64 s[0:1], vcc
	s_xor_b64 s[8:9], exec, s[0:1]
	s_cbranch_execz .LBB3_97
; %bb.84:
	v_and_b32_e32 v20, 0x7fffffff, v1
	v_mov_b32_e32 v21, v19
	s_mov_b64 s[0:1], 0x43e00001
	v_cmp_gt_u64_e32 vcc, s[0:1], v[20:21]
	s_and_saveexec_b64 s[0:1], vcc
	s_xor_b64 s[20:21], exec, s[0:1]
	s_cbranch_execz .LBB3_96
; %bb.85:
	v_cmp_ne_u32_e32 vcc, 0, v1
	v_pk_mov_b32 v[16:17], 0, 0
	s_and_saveexec_b64 s[22:23], vcc
	s_cbranch_execz .LBB3_95
; %bb.86:
	v_bfe_u32 v1, v1, 23, 8
	s_movk_i32 s0, 0x79
	v_sub_u32_e64 v9, s0, v1 clamp
	v_mov_b32_e32 v15, 0x78
	v_cmp_eq_u32_e32 vcc, 0, v1
	v_add_u32_e32 v13, 0xffffff88, v1
	v_cndmask_b32_e32 v1, v9, v15, vcc
	v_add_u32_e32 v9, 20, v1
	v_lshlrev_b64 v[16:17], v9, -1
	v_or_b32_e32 v11, 0x800000, v18
	v_not_b32_e32 v9, v17
	v_cndmask_b32_e32 v18, v11, v18, vcc
	v_not_b32_e32 v11, v16
	v_and_b32_e32 v17, 0, v9
	v_add_u32_e32 v9, 19, v1
	v_and_b32_e32 v16, v18, v11
	v_lshlrev_b64 v[20:21], v9, 1
	v_cmp_eq_u64_e64 s[0:1], v[16:17], v[20:21]
	v_lshrrev_b64 v[16:17], v1, v[18:19]
	v_mov_b32_e32 v9, 0xffffff89
	v_and_b32_e32 v18, 0x100000, v16
	v_mov_b32_e32 v19, 0
	v_cndmask_b32_e32 v9, v13, v9, vcc
	v_cmp_eq_u64_e32 vcc, 0, v[18:19]
	v_lshrrev_b32_e32 v11, 23, v16
	s_and_b64 vcc, vcc, s[0:1]
	v_add3_u32 v9, v9, v1, v11
	v_subbrev_co_u32_e32 v1, vcc, 0, v16, vcc
	v_and_b32_e32 v1, 0xfffff, v1
	v_add_co_u32_e32 v16, vcc, v1, v16
	v_add_u32_e32 v11, -1, v9
	v_addc_co_u32_e32 v17, vcc, 0, v17, vcc
	v_cmp_ne_u32_e32 vcc, 0, v11
                                        ; implicit-def: $vgpr1
	s_and_saveexec_b64 s[0:1], vcc
	s_xor_b64 s[0:1], exec, s[0:1]
; %bb.87:
	v_and_b32_e32 v18, 0x1000000, v16
	v_cmp_eq_u64_e32 vcc, 0, v[18:19]
	v_cndmask_b32_e32 v1, v9, v11, vcc
	v_bfe_u32 v9, v16, 24, 1
	v_lshrrev_b64 v[16:17], v9, v[16:17]
; %bb.88:
	s_andn2_saveexec_b64 s[0:1], s[0:1]
; %bb.89:
	v_bfe_u32 v1, v16, 23, 1
; %bb.90:
	s_or_b64 exec, exec, s[0:1]
	v_lshrrev_b64 v[16:17], 20, v[16:17]
	v_cmp_gt_i32_e32 vcc, 16, v1
	v_cndmask_b32_e32 v19, 0, v17, vcc
	v_cndmask_b32_e32 v18, 7, v16, vcc
	v_cmp_ne_u32_e32 vcc, 0, v1
	v_cmp_ne_u64_e64 s[0:1], 0, v[18:19]
	s_or_b64 s[0:1], vcc, s[0:1]
                                        ; implicit-def: $vgpr16_vgpr17
	s_and_saveexec_b64 s[24:25], s[0:1]
	s_xor_b64 s[0:1], exec, s[24:25]
; %bb.91:
	v_min_i32_e32 v1, 15, v1
	v_lshl_or_b32 v1, v1, 3, v2
	v_and_or_b32 v16, v18, 7, v1
                                        ; implicit-def: $vgpr2
; %bb.92:
	s_andn2_saveexec_b64 s[0:1], s[0:1]
; %bb.93:
	v_pk_mov_b32 v[16:17], v[2:3], v[2:3] op_sel:[0,1]
; %bb.94:
	s_or_b64 exec, exec, s[0:1]
.LBB3_95:
	s_or_b64 exec, exec, s[22:23]
.LBB3_96:
	s_andn2_saveexec_b64 s[0:1], s[20:21]
	s_or_b64 exec, exec, s[0:1]
                                        ; implicit-def: $vgpr1
                                        ; implicit-def: $vgpr18_vgpr19
.LBB3_97:
	s_andn2_saveexec_b64 s[0:1], s[8:9]
; %bb.98:
	s_movk_i32 s8, 0x7f
	v_or_b32_sdwa v1, v1, s8 dst_sel:DWORD dst_unused:UNUSED_PAD src0_sel:BYTE_3 src1_sel:DWORD
	v_cmp_eq_u64_e32 vcc, 0, v[18:19]
	v_cndmask_b32_e32 v16, v1, v16, vcc
; %bb.99:
	s_or_b64 exec, exec, s[0:1]
	v_and_b32_e32 v1, 0xffff, v3
	;;#ASMSTART
	v_cvt_f32_f16 v1, v1;
	;;#ASMEND
	v_mul_f32_e32 v1, v22, v1
	v_min_f32_e32 v1, 0x43e00000, v1
	v_max_f32_e32 v1, 0xc3e00000, v1
	v_mov_b32_e32 v21, 0
	s_movk_i32 s0, 0x80
	v_and_b32_sdwa v2, v1, s0 dst_sel:DWORD dst_unused:UNUSED_PAD src0_sel:BYTE_3 src1_sel:DWORD
	v_and_b32_e32 v26, 0x7f800000, v1
	v_mov_b32_e32 v27, v21
	s_mov_b64 s[0:1], 0x7f800000
	v_and_b32_e32 v20, 0x7fffff, v1
	v_or_b32_e32 v18, 0x7e, v2
	v_cmp_ne_u64_e32 vcc, s[0:1], v[26:27]
	s_and_saveexec_b64 s[0:1], vcc
	s_xor_b64 s[8:9], exec, s[0:1]
	s_cbranch_execz .LBB3_113
; %bb.100:
	v_and_b32_e32 v26, 0x7fffffff, v1
	v_mov_b32_e32 v27, v21
	s_mov_b64 s[0:1], 0x43e00001
	v_cmp_gt_u64_e32 vcc, s[0:1], v[26:27]
	s_and_saveexec_b64 s[0:1], vcc
	s_xor_b64 s[20:21], exec, s[0:1]
	s_cbranch_execz .LBB3_112
; %bb.101:
	v_cmp_ne_u32_e32 vcc, 0, v1
	v_pk_mov_b32 v[18:19], 0, 0
	s_and_saveexec_b64 s[22:23], vcc
	s_cbranch_execz .LBB3_111
; %bb.102:
	v_bfe_u32 v1, v1, 23, 8
	s_movk_i32 s0, 0x79
	v_sub_u32_e64 v9, s0, v1 clamp
	v_mov_b32_e32 v15, 0x78
	v_cmp_eq_u32_e32 vcc, 0, v1
	v_add_u32_e32 v13, 0xffffff88, v1
	v_cndmask_b32_e32 v1, v9, v15, vcc
	v_add_u32_e32 v9, 20, v1
	v_lshlrev_b64 v[18:19], v9, -1
	v_or_b32_e32 v11, 0x800000, v20
	v_not_b32_e32 v9, v19
	v_cndmask_b32_e32 v20, v11, v20, vcc
	v_not_b32_e32 v11, v18
	v_and_b32_e32 v19, 0, v9
	v_add_u32_e32 v9, 19, v1
	v_and_b32_e32 v18, v20, v11
	v_lshlrev_b64 v[26:27], v9, 1
	v_cmp_eq_u64_e64 s[0:1], v[18:19], v[26:27]
	v_lshrrev_b64 v[18:19], v1, v[20:21]
	v_mov_b32_e32 v9, 0xffffff89
	v_and_b32_e32 v20, 0x100000, v18
	v_mov_b32_e32 v21, 0
	v_cndmask_b32_e32 v9, v13, v9, vcc
	v_cmp_eq_u64_e32 vcc, 0, v[20:21]
	v_lshrrev_b32_e32 v11, 23, v18
	s_and_b64 vcc, vcc, s[0:1]
	v_add3_u32 v9, v9, v1, v11
	v_subbrev_co_u32_e32 v1, vcc, 0, v18, vcc
	v_and_b32_e32 v1, 0xfffff, v1
	v_add_co_u32_e32 v18, vcc, v1, v18
	v_add_u32_e32 v11, -1, v9
	v_addc_co_u32_e32 v19, vcc, 0, v19, vcc
	v_cmp_ne_u32_e32 vcc, 0, v11
                                        ; implicit-def: $vgpr1
	s_and_saveexec_b64 s[0:1], vcc
	s_xor_b64 s[0:1], exec, s[0:1]
; %bb.103:
	v_and_b32_e32 v20, 0x1000000, v18
	v_cmp_eq_u64_e32 vcc, 0, v[20:21]
	v_cndmask_b32_e32 v1, v9, v11, vcc
	v_bfe_u32 v9, v18, 24, 1
	v_lshrrev_b64 v[18:19], v9, v[18:19]
; %bb.104:
	s_andn2_saveexec_b64 s[0:1], s[0:1]
; %bb.105:
	v_bfe_u32 v1, v18, 23, 1
; %bb.106:
	s_or_b64 exec, exec, s[0:1]
	v_lshrrev_b64 v[18:19], 20, v[18:19]
	v_cmp_gt_i32_e32 vcc, 16, v1
	v_cndmask_b32_e32 v21, 0, v19, vcc
	v_cndmask_b32_e32 v20, 7, v18, vcc
	v_cmp_ne_u32_e32 vcc, 0, v1
	v_cmp_ne_u64_e64 s[0:1], 0, v[20:21]
	s_or_b64 s[0:1], vcc, s[0:1]
                                        ; implicit-def: $vgpr18_vgpr19
	s_and_saveexec_b64 s[24:25], s[0:1]
	s_xor_b64 s[0:1], exec, s[24:25]
; %bb.107:
	v_min_i32_e32 v1, 15, v1
	v_lshl_or_b32 v1, v1, 3, v2
	v_and_or_b32 v18, v20, 7, v1
                                        ; implicit-def: $vgpr2
; %bb.108:
	s_andn2_saveexec_b64 s[0:1], s[0:1]
; %bb.109:
	v_pk_mov_b32 v[18:19], v[2:3], v[2:3] op_sel:[0,1]
; %bb.110:
	s_or_b64 exec, exec, s[0:1]
.LBB3_111:
	s_or_b64 exec, exec, s[22:23]
.LBB3_112:
	s_andn2_saveexec_b64 s[0:1], s[20:21]
	s_or_b64 exec, exec, s[0:1]
                                        ; implicit-def: $vgpr1
                                        ; implicit-def: $vgpr20_vgpr21
.LBB3_113:
	s_andn2_saveexec_b64 s[0:1], s[8:9]
; %bb.114:
	s_movk_i32 s8, 0x7f
	v_or_b32_sdwa v1, v1, s8 dst_sel:DWORD dst_unused:UNUSED_PAD src0_sel:BYTE_3 src1_sel:DWORD
	v_cmp_eq_u64_e32 vcc, 0, v[20:21]
	v_cndmask_b32_e32 v18, v1, v18, vcc
; %bb.115:
	s_or_b64 exec, exec, s[0:1]
	v_lshrrev_b32_e32 v1, 16, v3
	;;#ASMSTART
	v_cvt_f32_f16 v1, v1;
	;;#ASMEND
	v_mul_f32_e32 v1, v22, v1
	v_min_f32_e32 v1, 0x43e00000, v1
	v_max_f32_e32 v1, 0xc3e00000, v1
	v_mov_b32_e32 v23, 0
	s_movk_i32 s0, 0x80
	v_and_b32_sdwa v2, v1, s0 dst_sel:DWORD dst_unused:UNUSED_PAD src0_sel:BYTE_3 src1_sel:DWORD
	v_and_b32_e32 v26, 0x7f800000, v1
	v_mov_b32_e32 v27, v23
	s_mov_b64 s[0:1], 0x7f800000
	v_and_b32_e32 v22, 0x7fffff, v1
	v_or_b32_e32 v20, 0x7e, v2
	v_cmp_ne_u64_e32 vcc, s[0:1], v[26:27]
	s_and_saveexec_b64 s[0:1], vcc
	s_xor_b64 s[8:9], exec, s[0:1]
	s_cbranch_execz .LBB3_129
; %bb.116:
	v_and_b32_e32 v26, 0x7fffffff, v1
	v_mov_b32_e32 v27, v23
	s_mov_b64 s[0:1], 0x43e00001
	v_cmp_gt_u64_e32 vcc, s[0:1], v[26:27]
	s_and_saveexec_b64 s[0:1], vcc
	s_xor_b64 s[20:21], exec, s[0:1]
	s_cbranch_execz .LBB3_128
; %bb.117:
	v_cmp_ne_u32_e32 vcc, 0, v1
	v_pk_mov_b32 v[20:21], 0, 0
	s_and_saveexec_b64 s[22:23], vcc
	s_cbranch_execz .LBB3_127
; %bb.118:
	v_bfe_u32 v1, v1, 23, 8
	s_movk_i32 s0, 0x79
	v_sub_u32_e64 v3, s0, v1 clamp
	v_mov_b32_e32 v13, 0x78
	v_cmp_eq_u32_e32 vcc, 0, v1
	v_add_u32_e32 v11, 0xffffff88, v1
	v_cndmask_b32_e32 v1, v3, v13, vcc
	v_add_u32_e32 v3, 20, v1
	v_lshlrev_b64 v[20:21], v3, -1
	v_or_b32_e32 v9, 0x800000, v22
	v_not_b32_e32 v3, v21
	v_cndmask_b32_e32 v22, v9, v22, vcc
	v_not_b32_e32 v9, v20
	v_and_b32_e32 v21, 0, v3
	v_add_u32_e32 v3, 19, v1
	v_and_b32_e32 v20, v22, v9
	v_lshlrev_b64 v[26:27], v3, 1
	v_cmp_eq_u64_e64 s[0:1], v[20:21], v[26:27]
	v_lshrrev_b64 v[20:21], v1, v[22:23]
	v_mov_b32_e32 v3, 0xffffff89
	v_and_b32_e32 v22, 0x100000, v20
	v_mov_b32_e32 v23, 0
	v_cndmask_b32_e32 v3, v11, v3, vcc
	v_cmp_eq_u64_e32 vcc, 0, v[22:23]
	v_lshrrev_b32_e32 v9, 23, v20
	s_and_b64 vcc, vcc, s[0:1]
	v_add3_u32 v3, v3, v1, v9
	v_subbrev_co_u32_e32 v1, vcc, 0, v20, vcc
	v_and_b32_e32 v1, 0xfffff, v1
	v_add_co_u32_e32 v20, vcc, v1, v20
	v_add_u32_e32 v9, -1, v3
	v_addc_co_u32_e32 v21, vcc, 0, v21, vcc
	v_cmp_ne_u32_e32 vcc, 0, v9
                                        ; implicit-def: $vgpr1
	s_and_saveexec_b64 s[0:1], vcc
	s_xor_b64 s[0:1], exec, s[0:1]
; %bb.119:
	v_and_b32_e32 v22, 0x1000000, v20
	v_cmp_eq_u64_e32 vcc, 0, v[22:23]
	v_cndmask_b32_e32 v1, v3, v9, vcc
	v_bfe_u32 v3, v20, 24, 1
	v_lshrrev_b64 v[20:21], v3, v[20:21]
; %bb.120:
	s_andn2_saveexec_b64 s[0:1], s[0:1]
; %bb.121:
	v_bfe_u32 v1, v20, 23, 1
; %bb.122:
	s_or_b64 exec, exec, s[0:1]
	v_lshrrev_b64 v[20:21], 20, v[20:21]
	v_cmp_gt_i32_e32 vcc, 16, v1
	v_cndmask_b32_e32 v23, 0, v21, vcc
	v_cndmask_b32_e32 v22, 7, v20, vcc
	v_cmp_ne_u32_e32 vcc, 0, v1
	v_cmp_ne_u64_e64 s[0:1], 0, v[22:23]
	s_or_b64 s[0:1], vcc, s[0:1]
                                        ; implicit-def: $vgpr20_vgpr21
	s_and_saveexec_b64 s[24:25], s[0:1]
	s_xor_b64 s[0:1], exec, s[24:25]
; %bb.123:
	v_min_i32_e32 v1, 15, v1
	v_lshl_or_b32 v1, v1, 3, v2
	v_and_or_b32 v20, v22, 7, v1
                                        ; implicit-def: $vgpr2
; %bb.124:
	s_andn2_saveexec_b64 s[0:1], s[0:1]
; %bb.125:
	v_pk_mov_b32 v[20:21], v[2:3], v[2:3] op_sel:[0,1]
; %bb.126:
	s_or_b64 exec, exec, s[0:1]
.LBB3_127:
	s_or_b64 exec, exec, s[22:23]
.LBB3_128:
	s_andn2_saveexec_b64 s[0:1], s[20:21]
	s_or_b64 exec, exec, s[0:1]
                                        ; implicit-def: $vgpr1
                                        ; implicit-def: $vgpr22_vgpr23
.LBB3_129:
	s_andn2_saveexec_b64 s[0:1], s[8:9]
; %bb.130:
	s_movk_i32 s8, 0x7f
	v_or_b32_sdwa v1, v1, s8 dst_sel:DWORD dst_unused:UNUSED_PAD src0_sel:BYTE_3 src1_sel:DWORD
	v_cmp_eq_u64_e32 vcc, 0, v[22:23]
	v_cndmask_b32_e32 v20, v1, v20, vcc
; %bb.131:
	s_or_b64 exec, exec, s[0:1]
	v_lshlrev_b64 v[2:3], 3, v[4:5]
	v_lshlrev_b32_e32 v5, 16, v18
	v_lshlrev_b32_e32 v1, 24, v20
	v_and_b32_e32 v5, 0xff0000, v5
	v_or_b32_e32 v1, v1, v5
	v_lshlrev_b32_e32 v5, 8, v16
	v_and_b32_e32 v5, 0xff00, v5
	v_and_b32_e32 v9, 0xff, v14
	v_or3_b32 v1, v1, v5, v9
	v_lshlrev_b32_e32 v5, 16, v12
	s_mov_b32 s1, 0x4020c0c
	s_mov_b32 s0, 0xff00
	v_lshlrev_b32_e32 v9, 8, v10
	v_perm_b32 v0, v0, v5, s1
	v_add_co_u32_e32 v2, vcc, v24, v2
	v_and_or_b32 v0, v9, s0, v0
	v_addc_co_u32_e32 v3, vcc, v25, v3, vcc
	v_or_b32_sdwa v0, v0, v8 dst_sel:DWORD dst_unused:UNUSED_PAD src0_sel:DWORD src1_sel:BYTE_0
	global_store_dwordx2 v[2:3], v[0:1], off
.LBB3_132:
	s_or_b64 exec, exec, s[6:7]
	s_cmp_lg_u64 s[10:11], 0
	s_cselect_b64 s[0:1], -1, 0
	v_cmp_eq_u32_e32 vcc, 0, v4
	s_and_b64 s[6:7], s[0:1], vcc
	s_and_saveexec_b64 s[0:1], s[6:7]
	s_cbranch_execz .LBB3_134
; %bb.133:
	v_mad_u64_u32 v[0:1], s[6:7], v7, s16, v[6:7]
	v_mov_b32_e32 v1, 0
	v_lshlrev_b64 v[0:1], 2, v[0:1]
	v_mov_b32_e32 v3, s3
	v_add_co_u32_e32 v2, vcc, s2, v0
	v_addc_co_u32_e32 v3, vcc, v3, v1, vcc
	global_load_dword v2, v[2:3], off
	v_mov_b32_e32 v3, s11
	v_add_co_u32_e32 v0, vcc, s10, v0
	v_addc_co_u32_e32 v1, vcc, v3, v1, vcc
	s_waitcnt vmcnt(0)
	global_store_dword v[0:1], v2, off
.LBB3_134:
	s_or_b64 exec, exec, s[0:1]
                                        ; implicit-def: $vgpr4
                                        ; implicit-def: $vgpr6
                                        ; implicit-def: $vgpr7
                                        ; implicit-def: $vgpr5
                                        ; implicit-def: $vgpr0_vgpr1
                                        ; implicit-def: $vgpr22
                                        ; implicit-def: $vgpr2
                                        ; implicit-def: $vgpr3
                                        ; implicit-def: $vgpr24
                                        ; implicit-def: $vgpr25
.LBB3_135:
	s_andn2_saveexec_b64 s[0:1], s[4:5]
	s_cbranch_execz .LBB3_403
; %bb.136:
	v_mad_u64_u32 v[6:7], s[0:1], v7, s16, v[6:7]
	v_mov_b32_e32 v7, 0
	v_lshlrev_b64 v[6:7], 2, v[6:7]
	v_mov_b32_e32 v9, s15
	v_add_co_u32_e32 v8, vcc, s14, v6
	v_addc_co_u32_e32 v9, vcc, v9, v7, vcc
	global_load_dword v10, v[8:9], off
	v_mov_b32_e32 v9, s3
	v_add_co_u32_e32 v8, vcc, s2, v6
	v_addc_co_u32_e32 v9, vcc, v9, v7, vcc
	global_load_dword v8, v[8:9], off
	v_mov_b32_e32 v9, s13
	v_add_co_u32_e32 v0, vcc, s12, v0
	s_mov_b32 s0, 0x7f800000
	v_addc_co_u32_e32 v1, vcc, v9, v1, vcc
	v_mov_b32_e32 v11, 0xff800000
	s_waitcnt vmcnt(1)
	v_cmp_neq_f32_e64 vcc, |v10|, s0
	v_cndmask_b32_e32 v9, v11, v10, vcc
	v_max_f32_e32 v10, v9, v9
	s_waitcnt vmcnt(0)
	v_cmp_neq_f32_e64 vcc, |v8|, s0
	v_cndmask_b32_e32 v8, v11, v8, vcc
	v_max_f32_e32 v11, v8, v8
	v_max_f32_e32 v26, v10, v11
	v_cmp_neq_f32_e64 s[0:1], |v26|, s0
	s_and_saveexec_b64 s[2:3], s[0:1]
	s_xor_b64 s[2:3], exec, s[2:3]
	s_cbranch_execz .LBB3_270
; %bb.137:
	v_sub_f32_e32 v9, v9, v26
	s_mov_b32 s0, 0x3fb8aa3b
	v_mul_f32_e32 v10, 0x3fb8aa3b, v9
	v_fma_f32 v11, v9, s0, -v10
	v_rndne_f32_e32 v12, v10
	v_fmac_f32_e32 v11, 0x32a5705f, v9
	v_sub_f32_e32 v10, v10, v12
	v_add_f32_e32 v10, v10, v11
	v_exp_f32_e32 v10, v10
	v_cvt_i32_f32_e32 v11, v12
	v_sub_f32_e32 v12, v8, v26
	s_mov_b32 s1, 0xc2ce8ed0
	v_cmp_ngt_f32_e32 vcc, s1, v9
	v_ldexp_f32 v8, v10, v11
	v_mul_f32_e32 v10, 0x3fb8aa3b, v12
	v_fma_f32 v11, v12, s0, -v10
	v_rndne_f32_e32 v13, v10
	v_fmac_f32_e32 v11, 0x32a5705f, v12
	v_sub_f32_e32 v10, v10, v13
	v_add_f32_e32 v10, v10, v11
	v_exp_f32_e32 v10, v10
	v_cvt_i32_f32_e32 v11, v13
	s_mov_b32 s4, 0x42b17218
	v_cndmask_b32_e32 v8, 0, v8, vcc
	v_mov_b32_e32 v13, 0x7f800000
	v_cmp_nlt_f32_e32 vcc, s4, v9
	v_cndmask_b32_e32 v8, v13, v8, vcc
	v_ldexp_f32 v9, v10, v11
	v_cmp_ngt_f32_e32 vcc, s1, v12
	v_cndmask_b32_e32 v9, 0, v9, vcc
	v_cmp_nlt_f32_e32 vcc, s4, v12
	v_cndmask_b32_e32 v10, v13, v9, vcc
	v_add_f32_e32 v27, v8, v10
	v_cmp_gt_u32_e32 vcc, s18, v5
	s_and_saveexec_b64 s[4:5], vcc
	s_cbranch_execz .LBB3_267
; %bb.138:
	v_mov_b32_e32 v5, 0
	v_lshlrev_b64 v[16:17], 4, v[4:5]
	v_add_co_u32_e32 v0, vcc, v0, v16
	v_addc_co_u32_e32 v1, vcc, v1, v17, vcc
	global_load_dwordx4 v[12:15], v[0:1], off
	v_add_co_u32_e32 v0, vcc, v2, v16
	v_addc_co_u32_e32 v1, vcc, v3, v17, vcc
	global_load_dwordx4 v[0:3], v[0:1], off
	v_div_scale_f32 v11, s[0:1], v27, v27, v10
	v_div_scale_f32 v17, s[0:1], v27, v27, v8
	v_rcp_f32_e32 v19, v11
	v_rcp_f32_e32 v20, v17
	v_div_scale_f32 v16, vcc, v10, v27, v10
	v_fma_f32 v21, -v11, v19, 1.0
	v_fma_f32 v23, -v17, v20, 1.0
	v_fmac_f32_e32 v19, v21, v19
	v_div_scale_f32 v18, s[0:1], v8, v27, v8
	v_fmac_f32_e32 v20, v23, v20
	v_mul_f32_e32 v21, v16, v19
	v_mul_f32_e32 v28, v18, v20
	v_fma_f32 v23, -v11, v21, v16
	v_fma_f32 v29, -v17, v28, v18
	v_fmac_f32_e32 v21, v23, v19
	v_fmac_f32_e32 v28, v29, v20
	v_fma_f32 v11, -v11, v21, v16
	v_fma_f32 v16, -v17, v28, v18
	v_div_fmas_f32 v11, v11, v19, v21
	s_mov_b64 vcc, s[0:1]
	v_div_fixup_f32 v23, v11, v27, v10
	v_div_fmas_f32 v10, v16, v20, v28
	v_div_fixup_f32 v28, v10, v27, v8
	s_movk_i32 s8, 0x80
	s_mov_b64 s[6:7], 0x7f800000
	v_mov_b32_e32 v33, v5
	v_mov_b32_e32 v9, v5
	s_waitcnt vmcnt(1)
	v_lshrrev_b32_e32 v8, 16, v12
	v_and_b32_e32 v12, 0xffff, v12
	;;#ASMSTART
	v_cvt_f32_f16 v31, v12;
	;;#ASMEND
	v_lshrrev_b32_e32 v11, 16, v13
	v_and_b32_e32 v13, 0xffff, v13
	s_waitcnt vmcnt(0)
	v_lshrrev_b32_e32 v10, 16, v0
	v_and_b32_e32 v0, 0xffff, v0
	;;#ASMSTART
	v_cvt_f32_f16 v0, v0;
	;;#ASMEND
	v_mul_f32_e32 v0, v23, v0
	v_fmac_f32_e32 v0, v28, v31
	v_mul_f32_e32 v0, v22, v0
	v_min_f32_e32 v0, 0x43e00000, v0
	v_lshrrev_b32_e32 v18, 16, v14
	v_lshrrev_b32_e32 v16, 16, v1
	;; [unrolled: 1-line block ×4, first 2 shown]
	v_and_b32_e32 v1, 0xffff, v1
	v_and_b32_e32 v17, 0xffff, v14
	;; [unrolled: 1-line block ×4, first 2 shown]
	;;#ASMSTART
	v_cvt_f32_f16 v3, v8;
	;;#ASMEND
	;;#ASMSTART
	v_cvt_f32_f16 v10, v10;
	;;#ASMEND
	;; [unrolled: 3-line block ×5, first 2 shown]
	v_max_f32_e32 v11, 0xc3e00000, v0
	v_lshrrev_b32_e32 v29, 16, v15
	v_and_b32_e32 v20, 0xffff, v15
	;;#ASMSTART
	v_cvt_f32_f16 v15, v16;
	;;#ASMEND
	;;#ASMSTART
	v_cvt_f32_f16 v16, v17;
	;;#ASMEND
	;; [unrolled: 3-line block ×3, first 2 shown]
	v_and_b32_sdwa v2, v11, s8 dst_sel:DWORD dst_unused:UNUSED_PAD src0_sel:BYTE_3 src1_sel:DWORD
	v_and_b32_e32 v32, 0x7f800000, v11
	v_and_b32_e32 v8, 0x7fffff, v11
	v_or_b32_e32 v0, 0x7e, v2
	v_cmp_ne_u64_e32 vcc, s[6:7], v[32:33]
	;;#ASMSTART
	v_cvt_f32_f16 v18, v18;
	;;#ASMEND
	;;#ASMSTART
	v_cvt_f32_f16 v19, v19;
	;;#ASMEND
	;; [unrolled: 3-line block ×6, first 2 shown]
	s_and_saveexec_b64 s[0:1], vcc
	s_xor_b64 s[6:7], exec, s[0:1]
	s_cbranch_execz .LBB3_152
; %bb.139:
	v_and_b32_e32 v32, 0x7fffffff, v11
	v_mov_b32_e32 v33, v5
	s_mov_b64 s[0:1], 0x43e00001
	v_cmp_gt_u64_e32 vcc, s[0:1], v[32:33]
	s_and_saveexec_b64 s[0:1], vcc
	s_xor_b64 s[8:9], exec, s[0:1]
	s_cbranch_execz .LBB3_151
; %bb.140:
	v_cmp_ne_u32_e32 vcc, 0, v11
	v_pk_mov_b32 v[0:1], 0, 0
	s_and_saveexec_b64 s[12:13], vcc
	s_cbranch_execz .LBB3_150
; %bb.141:
	v_bfe_u32 v0, v11, 23, 8
	s_movk_i32 s0, 0x79
	v_sub_u32_e64 v1, s0, v0 clamp
	v_mov_b32_e32 v32, 0x78
	v_cmp_eq_u32_e32 vcc, 0, v0
	v_cndmask_b32_e32 v34, v1, v32, vcc
	v_add_u32_e32 v31, 0xffffff88, v0
	v_add_u32_e32 v0, 20, v34
	v_or_b32_e32 v11, 0x800000, v8
	v_lshlrev_b64 v[0:1], v0, -1
	v_cndmask_b32_e32 v8, v11, v8, vcc
	v_not_b32_e32 v1, v1
	v_not_b32_e32 v0, v0
	v_add_u32_e32 v11, 19, v34
	v_and_b32_e32 v1, 0, v1
	v_and_b32_e32 v0, v8, v0
	v_lshlrev_b64 v[32:33], v11, 1
	v_cmp_eq_u64_e64 s[0:1], v[0:1], v[32:33]
	v_lshrrev_b64 v[0:1], v34, v[8:9]
	v_mov_b32_e32 v8, 0xffffff89
	v_cndmask_b32_e32 v8, v31, v8, vcc
	v_lshrrev_b32_e32 v9, 23, v0
	v_add3_u32 v31, v8, v34, v9
	v_and_b32_e32 v8, 0x100000, v0
	v_mov_b32_e32 v9, 0
	v_cmp_eq_u64_e32 vcc, 0, v[8:9]
	s_and_b64 vcc, vcc, s[0:1]
	v_subbrev_co_u32_e32 v8, vcc, 0, v0, vcc
	v_and_b32_e32 v8, 0xfffff, v8
	v_add_co_u32_e32 v0, vcc, v8, v0
	v_add_u32_e32 v32, -1, v31
	v_addc_co_u32_e32 v1, vcc, 0, v1, vcc
	v_cmp_ne_u32_e32 vcc, 0, v32
                                        ; implicit-def: $vgpr11
	s_and_saveexec_b64 s[0:1], vcc
	s_xor_b64 s[0:1], exec, s[0:1]
; %bb.142:
	v_and_b32_e32 v8, 0x1000000, v0
	v_cmp_eq_u64_e32 vcc, 0, v[8:9]
	v_bfe_u32 v8, v0, 24, 1
	v_cndmask_b32_e32 v11, v31, v32, vcc
	v_lshrrev_b64 v[0:1], v8, v[0:1]
; %bb.143:
	s_andn2_saveexec_b64 s[0:1], s[0:1]
; %bb.144:
	v_bfe_u32 v11, v0, 23, 1
; %bb.145:
	s_or_b64 exec, exec, s[0:1]
	v_lshrrev_b64 v[0:1], 20, v[0:1]
	v_cmp_gt_i32_e32 vcc, 16, v11
	v_cndmask_b32_e32 v9, 0, v1, vcc
	v_cndmask_b32_e32 v8, 7, v0, vcc
	v_cmp_ne_u32_e32 vcc, 0, v11
	v_cmp_ne_u64_e64 s[0:1], 0, v[8:9]
	s_or_b64 s[0:1], vcc, s[0:1]
                                        ; implicit-def: $vgpr0_vgpr1
	s_and_saveexec_b64 s[14:15], s[0:1]
	s_xor_b64 s[0:1], exec, s[14:15]
; %bb.146:
	v_min_i32_e32 v0, 15, v11
	v_lshl_or_b32 v0, v0, 3, v2
	v_and_or_b32 v0, v8, 7, v0
                                        ; implicit-def: $vgpr2
; %bb.147:
	s_andn2_saveexec_b64 s[0:1], s[0:1]
; %bb.148:
	v_pk_mov_b32 v[0:1], v[2:3], v[2:3] op_sel:[0,1]
; %bb.149:
	s_or_b64 exec, exec, s[0:1]
.LBB3_150:
	s_or_b64 exec, exec, s[12:13]
.LBB3_151:
	s_andn2_saveexec_b64 s[0:1], s[8:9]
	s_or_b64 exec, exec, s[0:1]
                                        ; implicit-def: $vgpr11
                                        ; implicit-def: $vgpr8_vgpr9
.LBB3_152:
	s_andn2_saveexec_b64 s[0:1], s[6:7]
; %bb.153:
	s_movk_i32 s6, 0x7f
	v_or_b32_sdwa v1, v11, s6 dst_sel:DWORD dst_unused:UNUSED_PAD src0_sel:BYTE_3 src1_sel:DWORD
	v_cmp_eq_u64_e32 vcc, 0, v[8:9]
	v_cndmask_b32_e32 v0, v1, v0, vcc
; %bb.154:
	s_or_b64 exec, exec, s[0:1]
	v_mul_f32_e32 v1, v23, v10
	v_fmac_f32_e32 v1, v28, v3
	v_mul_f32_e32 v1, v22, v1
	v_min_f32_e32 v1, 0x43e00000, v1
	v_max_f32_e32 v1, 0xc3e00000, v1
	v_mov_b32_e32 v11, 0
	s_movk_i32 s0, 0x80
	v_and_b32_sdwa v8, v1, s0 dst_sel:DWORD dst_unused:UNUSED_PAD src0_sel:BYTE_3 src1_sel:DWORD
	v_and_b32_e32 v32, 0x7f800000, v1
	v_mov_b32_e32 v33, v11
	s_mov_b64 s[0:1], 0x7f800000
	v_and_b32_e32 v10, 0x7fffff, v1
	v_or_b32_e32 v2, 0x7e, v8
	v_cmp_ne_u64_e32 vcc, s[0:1], v[32:33]
	s_and_saveexec_b64 s[0:1], vcc
	s_xor_b64 s[6:7], exec, s[0:1]
	s_cbranch_execz .LBB3_168
; %bb.155:
	v_and_b32_e32 v32, 0x7fffffff, v1
	v_mov_b32_e32 v33, v11
	s_mov_b64 s[0:1], 0x43e00001
	v_cmp_gt_u64_e32 vcc, s[0:1], v[32:33]
	s_and_saveexec_b64 s[0:1], vcc
	s_xor_b64 s[8:9], exec, s[0:1]
	s_cbranch_execz .LBB3_167
; %bb.156:
	v_cmp_ne_u32_e32 vcc, 0, v1
	v_pk_mov_b32 v[2:3], 0, 0
	s_and_saveexec_b64 s[12:13], vcc
	s_cbranch_execz .LBB3_166
; %bb.157:
	v_bfe_u32 v1, v1, 23, 8
	s_movk_i32 s0, 0x79
	v_sub_u32_e64 v2, s0, v1 clamp
	v_mov_b32_e32 v31, 0x78
	v_cmp_eq_u32_e32 vcc, 0, v1
	v_add_u32_e32 v9, 0xffffff88, v1
	v_cndmask_b32_e32 v1, v2, v31, vcc
	v_or_b32_e32 v3, 0x800000, v10
	v_add_u32_e32 v2, 20, v1
	v_cndmask_b32_e32 v10, v3, v10, vcc
	v_lshlrev_b64 v[2:3], v2, -1
	v_not_b32_e32 v3, v3
	v_not_b32_e32 v2, v2
	v_add_u32_e32 v31, 19, v1
	v_and_b32_e32 v3, 0, v3
	v_and_b32_e32 v2, v10, v2
	v_lshlrev_b64 v[32:33], v31, 1
	v_cmp_eq_u64_e64 s[0:1], v[2:3], v[32:33]
	v_lshrrev_b64 v[2:3], v1, v[10:11]
	v_mov_b32_e32 v10, 0xffffff89
	v_cndmask_b32_e32 v9, v9, v10, vcc
	v_lshrrev_b32_e32 v10, 23, v2
	v_add3_u32 v9, v9, v1, v10
	v_and_b32_e32 v10, 0x100000, v2
	v_mov_b32_e32 v11, 0
	v_cmp_eq_u64_e32 vcc, 0, v[10:11]
	s_and_b64 vcc, vcc, s[0:1]
	v_subbrev_co_u32_e32 v1, vcc, 0, v2, vcc
	v_and_b32_e32 v1, 0xfffff, v1
	v_add_co_u32_e32 v2, vcc, v1, v2
	v_add_u32_e32 v31, -1, v9
	v_addc_co_u32_e32 v3, vcc, 0, v3, vcc
	v_cmp_ne_u32_e32 vcc, 0, v31
                                        ; implicit-def: $vgpr1
	s_and_saveexec_b64 s[0:1], vcc
	s_xor_b64 s[0:1], exec, s[0:1]
; %bb.158:
	v_and_b32_e32 v10, 0x1000000, v2
	v_cmp_eq_u64_e32 vcc, 0, v[10:11]
	v_cndmask_b32_e32 v1, v9, v31, vcc
	v_bfe_u32 v9, v2, 24, 1
	v_lshrrev_b64 v[2:3], v9, v[2:3]
; %bb.159:
	s_andn2_saveexec_b64 s[0:1], s[0:1]
; %bb.160:
	v_bfe_u32 v1, v2, 23, 1
; %bb.161:
	s_or_b64 exec, exec, s[0:1]
	v_lshrrev_b64 v[2:3], 20, v[2:3]
	v_cmp_gt_i32_e32 vcc, 16, v1
	v_cndmask_b32_e32 v11, 0, v3, vcc
	v_cndmask_b32_e32 v10, 7, v2, vcc
	v_cmp_ne_u32_e32 vcc, 0, v1
	v_cmp_ne_u64_e64 s[0:1], 0, v[10:11]
	s_or_b64 s[0:1], vcc, s[0:1]
                                        ; implicit-def: $vgpr2_vgpr3
	s_and_saveexec_b64 s[14:15], s[0:1]
	s_xor_b64 s[0:1], exec, s[14:15]
; %bb.162:
	v_min_i32_e32 v1, 15, v1
	v_lshl_or_b32 v1, v1, 3, v8
	v_and_or_b32 v2, v10, 7, v1
                                        ; implicit-def: $vgpr8
; %bb.163:
	s_andn2_saveexec_b64 s[0:1], s[0:1]
; %bb.164:
	v_pk_mov_b32 v[2:3], v[8:9], v[8:9] op_sel:[0,1]
; %bb.165:
	s_or_b64 exec, exec, s[0:1]
.LBB3_166:
	s_or_b64 exec, exec, s[12:13]
.LBB3_167:
	s_andn2_saveexec_b64 s[0:1], s[8:9]
	s_or_b64 exec, exec, s[0:1]
                                        ; implicit-def: $vgpr1
                                        ; implicit-def: $vgpr10_vgpr11
.LBB3_168:
	s_andn2_saveexec_b64 s[0:1], s[6:7]
; %bb.169:
	s_movk_i32 s6, 0x7f
	v_or_b32_sdwa v1, v1, s6 dst_sel:DWORD dst_unused:UNUSED_PAD src0_sel:BYTE_3 src1_sel:DWORD
	v_cmp_eq_u64_e32 vcc, 0, v[10:11]
	v_cndmask_b32_e32 v2, v1, v2, vcc
; %bb.170:
	s_or_b64 exec, exec, s[0:1]
	v_mul_f32_e32 v1, v23, v13
	v_fmac_f32_e32 v1, v28, v12
	v_mul_f32_e32 v1, v22, v1
	v_min_f32_e32 v1, 0x43e00000, v1
	v_max_f32_e32 v1, 0xc3e00000, v1
	v_mov_b32_e32 v13, 0
	s_movk_i32 s0, 0x80
	v_and_b32_sdwa v10, v1, s0 dst_sel:DWORD dst_unused:UNUSED_PAD src0_sel:BYTE_3 src1_sel:DWORD
	v_and_b32_e32 v32, 0x7f800000, v1
	v_mov_b32_e32 v33, v13
	s_mov_b64 s[0:1], 0x7f800000
	v_and_b32_e32 v12, 0x7fffff, v1
	v_or_b32_e32 v8, 0x7e, v10
	v_cmp_ne_u64_e32 vcc, s[0:1], v[32:33]
	s_and_saveexec_b64 s[0:1], vcc
	s_xor_b64 s[6:7], exec, s[0:1]
	s_cbranch_execz .LBB3_184
; %bb.171:
	v_and_b32_e32 v32, 0x7fffffff, v1
	v_mov_b32_e32 v33, v13
	s_mov_b64 s[0:1], 0x43e00001
	v_cmp_gt_u64_e32 vcc, s[0:1], v[32:33]
	s_and_saveexec_b64 s[0:1], vcc
	s_xor_b64 s[8:9], exec, s[0:1]
	s_cbranch_execz .LBB3_183
; %bb.172:
	v_cmp_ne_u32_e32 vcc, 0, v1
	v_pk_mov_b32 v[8:9], 0, 0
	s_and_saveexec_b64 s[12:13], vcc
	s_cbranch_execz .LBB3_182
; %bb.173:
	v_bfe_u32 v1, v1, 23, 8
	s_movk_i32 s0, 0x79
	v_sub_u32_e64 v3, s0, v1 clamp
	v_mov_b32_e32 v9, 0x78
	v_cmp_eq_u32_e32 vcc, 0, v1
	v_add_u32_e32 v11, 0xffffff88, v1
	v_cndmask_b32_e32 v1, v3, v9, vcc
	v_or_b32_e32 v8, 0x800000, v12
	v_add_u32_e32 v3, 20, v1
	v_cndmask_b32_e32 v12, v8, v12, vcc
	v_lshlrev_b64 v[8:9], v3, -1
	v_not_b32_e32 v3, v9
	v_not_b32_e32 v8, v8
	v_and_b32_e32 v9, 0, v3
	v_add_u32_e32 v3, 19, v1
	v_and_b32_e32 v8, v12, v8
	v_lshlrev_b64 v[32:33], v3, 1
	v_cmp_eq_u64_e64 s[0:1], v[8:9], v[32:33]
	v_lshrrev_b64 v[8:9], v1, v[12:13]
	v_mov_b32_e32 v3, 0xffffff89
	v_and_b32_e32 v12, 0x100000, v8
	v_mov_b32_e32 v13, 0
	v_cndmask_b32_e32 v3, v11, v3, vcc
	v_cmp_eq_u64_e32 vcc, 0, v[12:13]
	v_lshrrev_b32_e32 v11, 23, v8
	s_and_b64 vcc, vcc, s[0:1]
	v_add3_u32 v3, v3, v1, v11
	v_subbrev_co_u32_e32 v1, vcc, 0, v8, vcc
	v_and_b32_e32 v1, 0xfffff, v1
	v_add_co_u32_e32 v8, vcc, v1, v8
	v_add_u32_e32 v11, -1, v3
	v_addc_co_u32_e32 v9, vcc, 0, v9, vcc
	v_cmp_ne_u32_e32 vcc, 0, v11
                                        ; implicit-def: $vgpr1
	s_and_saveexec_b64 s[0:1], vcc
	s_xor_b64 s[0:1], exec, s[0:1]
; %bb.174:
	v_and_b32_e32 v12, 0x1000000, v8
	v_cmp_eq_u64_e32 vcc, 0, v[12:13]
	v_cndmask_b32_e32 v1, v3, v11, vcc
	v_bfe_u32 v3, v8, 24, 1
	v_lshrrev_b64 v[8:9], v3, v[8:9]
; %bb.175:
	s_andn2_saveexec_b64 s[0:1], s[0:1]
; %bb.176:
	v_bfe_u32 v1, v8, 23, 1
; %bb.177:
	s_or_b64 exec, exec, s[0:1]
	v_lshrrev_b64 v[8:9], 20, v[8:9]
	v_cmp_gt_i32_e32 vcc, 16, v1
	v_cndmask_b32_e32 v13, 0, v9, vcc
	v_cndmask_b32_e32 v12, 7, v8, vcc
	v_cmp_ne_u32_e32 vcc, 0, v1
	v_cmp_ne_u64_e64 s[0:1], 0, v[12:13]
	s_or_b64 s[0:1], vcc, s[0:1]
                                        ; implicit-def: $vgpr8_vgpr9
	s_and_saveexec_b64 s[14:15], s[0:1]
	s_xor_b64 s[0:1], exec, s[14:15]
; %bb.178:
	v_min_i32_e32 v1, 15, v1
	v_lshl_or_b32 v1, v1, 3, v10
	v_and_or_b32 v8, v12, 7, v1
                                        ; implicit-def: $vgpr10
; %bb.179:
	s_andn2_saveexec_b64 s[0:1], s[0:1]
; %bb.180:
	v_pk_mov_b32 v[8:9], v[10:11], v[10:11] op_sel:[0,1]
; %bb.181:
	s_or_b64 exec, exec, s[0:1]
.LBB3_182:
	s_or_b64 exec, exec, s[12:13]
.LBB3_183:
	s_andn2_saveexec_b64 s[0:1], s[8:9]
	s_or_b64 exec, exec, s[0:1]
                                        ; implicit-def: $vgpr1
                                        ; implicit-def: $vgpr12_vgpr13
.LBB3_184:
	s_andn2_saveexec_b64 s[0:1], s[6:7]
; %bb.185:
	s_movk_i32 s6, 0x7f
	v_or_b32_sdwa v1, v1, s6 dst_sel:DWORD dst_unused:UNUSED_PAD src0_sel:BYTE_3 src1_sel:DWORD
	v_cmp_eq_u64_e32 vcc, 0, v[12:13]
	v_cndmask_b32_e32 v8, v1, v8, vcc
; %bb.186:
	s_or_b64 exec, exec, s[0:1]
	v_mul_f32_e32 v1, v23, v15
	v_fmac_f32_e32 v1, v28, v14
	v_mul_f32_e32 v1, v22, v1
	v_min_f32_e32 v1, 0x43e00000, v1
	v_max_f32_e32 v1, 0xc3e00000, v1
	v_mov_b32_e32 v15, 0
	s_movk_i32 s0, 0x80
	v_and_b32_sdwa v12, v1, s0 dst_sel:DWORD dst_unused:UNUSED_PAD src0_sel:BYTE_3 src1_sel:DWORD
	v_and_b32_e32 v32, 0x7f800000, v1
	v_mov_b32_e32 v33, v15
	s_mov_b64 s[0:1], 0x7f800000
	v_and_b32_e32 v14, 0x7fffff, v1
	v_or_b32_e32 v10, 0x7e, v12
	v_cmp_ne_u64_e32 vcc, s[0:1], v[32:33]
	s_and_saveexec_b64 s[0:1], vcc
	s_xor_b64 s[6:7], exec, s[0:1]
	s_cbranch_execz .LBB3_200
; %bb.187:
	v_and_b32_e32 v32, 0x7fffffff, v1
	v_mov_b32_e32 v33, v15
	s_mov_b64 s[0:1], 0x43e00001
	v_cmp_gt_u64_e32 vcc, s[0:1], v[32:33]
	s_and_saveexec_b64 s[0:1], vcc
	s_xor_b64 s[8:9], exec, s[0:1]
	s_cbranch_execz .LBB3_199
; %bb.188:
	v_cmp_ne_u32_e32 vcc, 0, v1
	v_pk_mov_b32 v[10:11], 0, 0
	s_and_saveexec_b64 s[12:13], vcc
	s_cbranch_execz .LBB3_198
; %bb.189:
	v_bfe_u32 v1, v1, 23, 8
	s_movk_i32 s0, 0x79
	v_sub_u32_e64 v3, s0, v1 clamp
	v_mov_b32_e32 v10, 0x78
	v_cmp_eq_u32_e32 vcc, 0, v1
	v_add_u32_e32 v13, 0xffffff88, v1
	v_cndmask_b32_e32 v1, v3, v10, vcc
	v_add_u32_e32 v3, 20, v1
	v_lshlrev_b64 v[10:11], v3, -1
	v_or_b32_e32 v9, 0x800000, v14
	v_not_b32_e32 v3, v11
	v_cndmask_b32_e32 v14, v9, v14, vcc
	v_not_b32_e32 v9, v10
	v_and_b32_e32 v11, 0, v3
	v_add_u32_e32 v3, 19, v1
	v_and_b32_e32 v10, v14, v9
	v_lshlrev_b64 v[32:33], v3, 1
	v_cmp_eq_u64_e64 s[0:1], v[10:11], v[32:33]
	v_lshrrev_b64 v[10:11], v1, v[14:15]
	v_mov_b32_e32 v3, 0xffffff89
	v_and_b32_e32 v14, 0x100000, v10
	v_mov_b32_e32 v15, 0
	v_cndmask_b32_e32 v3, v13, v3, vcc
	v_cmp_eq_u64_e32 vcc, 0, v[14:15]
	v_lshrrev_b32_e32 v9, 23, v10
	s_and_b64 vcc, vcc, s[0:1]
	v_add3_u32 v3, v3, v1, v9
	v_subbrev_co_u32_e32 v1, vcc, 0, v10, vcc
	v_and_b32_e32 v1, 0xfffff, v1
	v_add_co_u32_e32 v10, vcc, v1, v10
	v_add_u32_e32 v9, -1, v3
	v_addc_co_u32_e32 v11, vcc, 0, v11, vcc
	v_cmp_ne_u32_e32 vcc, 0, v9
                                        ; implicit-def: $vgpr1
	s_and_saveexec_b64 s[0:1], vcc
	s_xor_b64 s[0:1], exec, s[0:1]
; %bb.190:
	v_and_b32_e32 v14, 0x1000000, v10
	v_cmp_eq_u64_e32 vcc, 0, v[14:15]
	v_cndmask_b32_e32 v1, v3, v9, vcc
	v_bfe_u32 v3, v10, 24, 1
	v_lshrrev_b64 v[10:11], v3, v[10:11]
; %bb.191:
	s_andn2_saveexec_b64 s[0:1], s[0:1]
; %bb.192:
	v_bfe_u32 v1, v10, 23, 1
; %bb.193:
	s_or_b64 exec, exec, s[0:1]
	v_lshrrev_b64 v[10:11], 20, v[10:11]
	v_cmp_gt_i32_e32 vcc, 16, v1
	v_cndmask_b32_e32 v15, 0, v11, vcc
	v_cndmask_b32_e32 v14, 7, v10, vcc
	v_cmp_ne_u32_e32 vcc, 0, v1
	v_cmp_ne_u64_e64 s[0:1], 0, v[14:15]
	s_or_b64 s[0:1], vcc, s[0:1]
                                        ; implicit-def: $vgpr10_vgpr11
	s_and_saveexec_b64 s[14:15], s[0:1]
	s_xor_b64 s[0:1], exec, s[14:15]
; %bb.194:
	v_min_i32_e32 v1, 15, v1
	v_lshl_or_b32 v1, v1, 3, v12
	v_and_or_b32 v10, v14, 7, v1
                                        ; implicit-def: $vgpr12
; %bb.195:
	s_andn2_saveexec_b64 s[0:1], s[0:1]
; %bb.196:
	v_pk_mov_b32 v[10:11], v[12:13], v[12:13] op_sel:[0,1]
; %bb.197:
	s_or_b64 exec, exec, s[0:1]
.LBB3_198:
	s_or_b64 exec, exec, s[12:13]
.LBB3_199:
	s_andn2_saveexec_b64 s[0:1], s[8:9]
	s_or_b64 exec, exec, s[0:1]
                                        ; implicit-def: $vgpr1
                                        ; implicit-def: $vgpr14_vgpr15
.LBB3_200:
	s_andn2_saveexec_b64 s[0:1], s[6:7]
; %bb.201:
	s_movk_i32 s6, 0x7f
	v_or_b32_sdwa v1, v1, s6 dst_sel:DWORD dst_unused:UNUSED_PAD src0_sel:BYTE_3 src1_sel:DWORD
	v_cmp_eq_u64_e32 vcc, 0, v[14:15]
	v_cndmask_b32_e32 v10, v1, v10, vcc
; %bb.202:
	s_or_b64 exec, exec, s[0:1]
	v_mul_f32_e32 v1, v23, v17
	v_fmac_f32_e32 v1, v28, v16
	v_mul_f32_e32 v1, v22, v1
	v_min_f32_e32 v1, 0x43e00000, v1
	v_max_f32_e32 v1, 0xc3e00000, v1
	v_mov_b32_e32 v17, 0
	s_movk_i32 s0, 0x80
	v_and_b32_sdwa v14, v1, s0 dst_sel:DWORD dst_unused:UNUSED_PAD src0_sel:BYTE_3 src1_sel:DWORD
	v_and_b32_e32 v32, 0x7f800000, v1
	v_mov_b32_e32 v33, v17
	s_mov_b64 s[0:1], 0x7f800000
	v_and_b32_e32 v16, 0x7fffff, v1
	v_or_b32_e32 v12, 0x7e, v14
	v_cmp_ne_u64_e32 vcc, s[0:1], v[32:33]
	s_and_saveexec_b64 s[0:1], vcc
	s_xor_b64 s[6:7], exec, s[0:1]
	s_cbranch_execz .LBB3_216
; %bb.203:
	v_and_b32_e32 v32, 0x7fffffff, v1
	v_mov_b32_e32 v33, v17
	s_mov_b64 s[0:1], 0x43e00001
	v_cmp_gt_u64_e32 vcc, s[0:1], v[32:33]
	s_and_saveexec_b64 s[0:1], vcc
	s_xor_b64 s[8:9], exec, s[0:1]
	s_cbranch_execz .LBB3_215
; %bb.204:
	v_cmp_ne_u32_e32 vcc, 0, v1
	v_pk_mov_b32 v[12:13], 0, 0
	s_and_saveexec_b64 s[12:13], vcc
	s_cbranch_execz .LBB3_214
; %bb.205:
	v_bfe_u32 v1, v1, 23, 8
	s_movk_i32 s0, 0x79
	v_sub_u32_e64 v3, s0, v1 clamp
	v_mov_b32_e32 v12, 0x78
	v_cmp_eq_u32_e32 vcc, 0, v1
	v_add_u32_e32 v11, 0xffffff88, v1
	v_cndmask_b32_e32 v1, v3, v12, vcc
	v_add_u32_e32 v3, 20, v1
	v_lshlrev_b64 v[12:13], v3, -1
	v_or_b32_e32 v9, 0x800000, v16
	v_not_b32_e32 v3, v13
	v_cndmask_b32_e32 v16, v9, v16, vcc
	v_not_b32_e32 v9, v12
	v_and_b32_e32 v13, 0, v3
	v_add_u32_e32 v3, 19, v1
	v_and_b32_e32 v12, v16, v9
	v_lshlrev_b64 v[32:33], v3, 1
	v_cmp_eq_u64_e64 s[0:1], v[12:13], v[32:33]
	v_lshrrev_b64 v[12:13], v1, v[16:17]
	v_mov_b32_e32 v3, 0xffffff89
	v_and_b32_e32 v16, 0x100000, v12
	v_mov_b32_e32 v17, 0
	v_cndmask_b32_e32 v3, v11, v3, vcc
	v_cmp_eq_u64_e32 vcc, 0, v[16:17]
	v_lshrrev_b32_e32 v9, 23, v12
	s_and_b64 vcc, vcc, s[0:1]
	v_add3_u32 v3, v3, v1, v9
	v_subbrev_co_u32_e32 v1, vcc, 0, v12, vcc
	v_and_b32_e32 v1, 0xfffff, v1
	v_add_co_u32_e32 v12, vcc, v1, v12
	v_add_u32_e32 v9, -1, v3
	v_addc_co_u32_e32 v13, vcc, 0, v13, vcc
	v_cmp_ne_u32_e32 vcc, 0, v9
                                        ; implicit-def: $vgpr1
	s_and_saveexec_b64 s[0:1], vcc
	s_xor_b64 s[0:1], exec, s[0:1]
; %bb.206:
	v_and_b32_e32 v16, 0x1000000, v12
	v_cmp_eq_u64_e32 vcc, 0, v[16:17]
	v_cndmask_b32_e32 v1, v3, v9, vcc
	v_bfe_u32 v3, v12, 24, 1
	v_lshrrev_b64 v[12:13], v3, v[12:13]
; %bb.207:
	s_andn2_saveexec_b64 s[0:1], s[0:1]
; %bb.208:
	v_bfe_u32 v1, v12, 23, 1
; %bb.209:
	s_or_b64 exec, exec, s[0:1]
	v_lshrrev_b64 v[12:13], 20, v[12:13]
	v_cmp_gt_i32_e32 vcc, 16, v1
	v_cndmask_b32_e32 v17, 0, v13, vcc
	v_cndmask_b32_e32 v16, 7, v12, vcc
	v_cmp_ne_u32_e32 vcc, 0, v1
	v_cmp_ne_u64_e64 s[0:1], 0, v[16:17]
	s_or_b64 s[0:1], vcc, s[0:1]
                                        ; implicit-def: $vgpr12_vgpr13
	s_and_saveexec_b64 s[14:15], s[0:1]
	s_xor_b64 s[0:1], exec, s[14:15]
; %bb.210:
	v_min_i32_e32 v1, 15, v1
	v_lshl_or_b32 v1, v1, 3, v14
	v_and_or_b32 v12, v16, 7, v1
                                        ; implicit-def: $vgpr14
; %bb.211:
	s_andn2_saveexec_b64 s[0:1], s[0:1]
; %bb.212:
	v_pk_mov_b32 v[12:13], v[14:15], v[14:15] op_sel:[0,1]
; %bb.213:
	s_or_b64 exec, exec, s[0:1]
.LBB3_214:
	s_or_b64 exec, exec, s[12:13]
.LBB3_215:
	s_andn2_saveexec_b64 s[0:1], s[8:9]
	s_or_b64 exec, exec, s[0:1]
                                        ; implicit-def: $vgpr1
                                        ; implicit-def: $vgpr16_vgpr17
.LBB3_216:
	s_andn2_saveexec_b64 s[0:1], s[6:7]
; %bb.217:
	s_movk_i32 s6, 0x7f
	v_or_b32_sdwa v1, v1, s6 dst_sel:DWORD dst_unused:UNUSED_PAD src0_sel:BYTE_3 src1_sel:DWORD
	v_cmp_eq_u64_e32 vcc, 0, v[16:17]
	v_cndmask_b32_e32 v12, v1, v12, vcc
; %bb.218:
	s_or_b64 exec, exec, s[0:1]
	v_mul_f32_e32 v1, v23, v19
	v_fmac_f32_e32 v1, v28, v18
	v_mul_f32_e32 v1, v22, v1
	v_min_f32_e32 v1, 0x43e00000, v1
	v_max_f32_e32 v1, 0xc3e00000, v1
	v_mov_b32_e32 v19, 0
	s_movk_i32 s0, 0x80
	v_and_b32_sdwa v16, v1, s0 dst_sel:DWORD dst_unused:UNUSED_PAD src0_sel:BYTE_3 src1_sel:DWORD
	v_and_b32_e32 v32, 0x7f800000, v1
	v_mov_b32_e32 v33, v19
	s_mov_b64 s[0:1], 0x7f800000
	v_and_b32_e32 v18, 0x7fffff, v1
	v_or_b32_e32 v14, 0x7e, v16
	v_cmp_ne_u64_e32 vcc, s[0:1], v[32:33]
	s_and_saveexec_b64 s[0:1], vcc
	s_xor_b64 s[6:7], exec, s[0:1]
	s_cbranch_execz .LBB3_232
; %bb.219:
	v_and_b32_e32 v32, 0x7fffffff, v1
	v_mov_b32_e32 v33, v19
	s_mov_b64 s[0:1], 0x43e00001
	v_cmp_gt_u64_e32 vcc, s[0:1], v[32:33]
	s_and_saveexec_b64 s[0:1], vcc
	s_xor_b64 s[8:9], exec, s[0:1]
	s_cbranch_execz .LBB3_231
; %bb.220:
	v_cmp_ne_u32_e32 vcc, 0, v1
	v_pk_mov_b32 v[14:15], 0, 0
	s_and_saveexec_b64 s[12:13], vcc
	s_cbranch_execz .LBB3_230
; %bb.221:
	v_bfe_u32 v1, v1, 23, 8
	s_movk_i32 s0, 0x79
	v_sub_u32_e64 v3, s0, v1 clamp
	v_mov_b32_e32 v13, 0x78
	v_cmp_eq_u32_e32 vcc, 0, v1
	v_add_u32_e32 v11, 0xffffff88, v1
	v_cndmask_b32_e32 v1, v3, v13, vcc
	v_add_u32_e32 v3, 20, v1
	v_lshlrev_b64 v[14:15], v3, -1
	v_or_b32_e32 v9, 0x800000, v18
	v_not_b32_e32 v3, v15
	v_cndmask_b32_e32 v18, v9, v18, vcc
	v_not_b32_e32 v9, v14
	v_and_b32_e32 v15, 0, v3
	v_add_u32_e32 v3, 19, v1
	v_and_b32_e32 v14, v18, v9
	v_lshlrev_b64 v[32:33], v3, 1
	v_cmp_eq_u64_e64 s[0:1], v[14:15], v[32:33]
	v_lshrrev_b64 v[14:15], v1, v[18:19]
	v_mov_b32_e32 v3, 0xffffff89
	v_and_b32_e32 v18, 0x100000, v14
	v_mov_b32_e32 v19, 0
	v_cndmask_b32_e32 v3, v11, v3, vcc
	v_cmp_eq_u64_e32 vcc, 0, v[18:19]
	v_lshrrev_b32_e32 v9, 23, v14
	s_and_b64 vcc, vcc, s[0:1]
	v_add3_u32 v3, v3, v1, v9
	v_subbrev_co_u32_e32 v1, vcc, 0, v14, vcc
	v_and_b32_e32 v1, 0xfffff, v1
	v_add_co_u32_e32 v14, vcc, v1, v14
	v_add_u32_e32 v9, -1, v3
	v_addc_co_u32_e32 v15, vcc, 0, v15, vcc
	v_cmp_ne_u32_e32 vcc, 0, v9
                                        ; implicit-def: $vgpr1
	s_and_saveexec_b64 s[0:1], vcc
	s_xor_b64 s[0:1], exec, s[0:1]
; %bb.222:
	v_and_b32_e32 v18, 0x1000000, v14
	v_cmp_eq_u64_e32 vcc, 0, v[18:19]
	v_cndmask_b32_e32 v1, v3, v9, vcc
	v_bfe_u32 v3, v14, 24, 1
	v_lshrrev_b64 v[14:15], v3, v[14:15]
; %bb.223:
	s_andn2_saveexec_b64 s[0:1], s[0:1]
; %bb.224:
	v_bfe_u32 v1, v14, 23, 1
; %bb.225:
	s_or_b64 exec, exec, s[0:1]
	v_lshrrev_b64 v[14:15], 20, v[14:15]
	v_cmp_gt_i32_e32 vcc, 16, v1
	v_cndmask_b32_e32 v19, 0, v15, vcc
	v_cndmask_b32_e32 v18, 7, v14, vcc
	v_cmp_ne_u32_e32 vcc, 0, v1
	v_cmp_ne_u64_e64 s[0:1], 0, v[18:19]
	s_or_b64 s[0:1], vcc, s[0:1]
                                        ; implicit-def: $vgpr14_vgpr15
	s_and_saveexec_b64 s[14:15], s[0:1]
	s_xor_b64 s[0:1], exec, s[14:15]
; %bb.226:
	v_min_i32_e32 v1, 15, v1
	v_lshl_or_b32 v1, v1, 3, v16
	v_and_or_b32 v14, v18, 7, v1
                                        ; implicit-def: $vgpr16
; %bb.227:
	s_andn2_saveexec_b64 s[0:1], s[0:1]
; %bb.228:
	v_pk_mov_b32 v[14:15], v[16:17], v[16:17] op_sel:[0,1]
; %bb.229:
	s_or_b64 exec, exec, s[0:1]
.LBB3_230:
	s_or_b64 exec, exec, s[12:13]
.LBB3_231:
	s_andn2_saveexec_b64 s[0:1], s[8:9]
	s_or_b64 exec, exec, s[0:1]
                                        ; implicit-def: $vgpr1
                                        ; implicit-def: $vgpr18_vgpr19
.LBB3_232:
	s_andn2_saveexec_b64 s[0:1], s[6:7]
; %bb.233:
	s_movk_i32 s6, 0x7f
	v_or_b32_sdwa v1, v1, s6 dst_sel:DWORD dst_unused:UNUSED_PAD src0_sel:BYTE_3 src1_sel:DWORD
	v_cmp_eq_u64_e32 vcc, 0, v[18:19]
	v_cndmask_b32_e32 v14, v1, v14, vcc
; %bb.234:
	s_or_b64 exec, exec, s[0:1]
	v_mul_f32_e32 v1, v23, v21
	v_fmac_f32_e32 v1, v28, v20
	v_mul_f32_e32 v1, v22, v1
	v_min_f32_e32 v1, 0x43e00000, v1
	v_max_f32_e32 v1, 0xc3e00000, v1
	v_mov_b32_e32 v21, 0
	s_movk_i32 s0, 0x80
	v_and_b32_sdwa v18, v1, s0 dst_sel:DWORD dst_unused:UNUSED_PAD src0_sel:BYTE_3 src1_sel:DWORD
	v_and_b32_e32 v32, 0x7f800000, v1
	v_mov_b32_e32 v33, v21
	s_mov_b64 s[0:1], 0x7f800000
	v_and_b32_e32 v20, 0x7fffff, v1
	v_or_b32_e32 v16, 0x7e, v18
	v_cmp_ne_u64_e32 vcc, s[0:1], v[32:33]
	s_and_saveexec_b64 s[0:1], vcc
	s_xor_b64 s[6:7], exec, s[0:1]
	s_cbranch_execz .LBB3_248
; %bb.235:
	v_and_b32_e32 v32, 0x7fffffff, v1
	v_mov_b32_e32 v33, v21
	s_mov_b64 s[0:1], 0x43e00001
	v_cmp_gt_u64_e32 vcc, s[0:1], v[32:33]
	s_and_saveexec_b64 s[0:1], vcc
	s_xor_b64 s[8:9], exec, s[0:1]
	s_cbranch_execz .LBB3_247
; %bb.236:
	v_cmp_ne_u32_e32 vcc, 0, v1
	v_pk_mov_b32 v[16:17], 0, 0
	s_and_saveexec_b64 s[12:13], vcc
	s_cbranch_execz .LBB3_246
; %bb.237:
	v_bfe_u32 v1, v1, 23, 8
	s_movk_i32 s0, 0x79
	v_sub_u32_e64 v3, s0, v1 clamp
	v_mov_b32_e32 v13, 0x78
	v_cmp_eq_u32_e32 vcc, 0, v1
	v_add_u32_e32 v11, 0xffffff88, v1
	v_cndmask_b32_e32 v1, v3, v13, vcc
	v_add_u32_e32 v3, 20, v1
	v_lshlrev_b64 v[16:17], v3, -1
	v_or_b32_e32 v9, 0x800000, v20
	v_not_b32_e32 v3, v17
	v_cndmask_b32_e32 v20, v9, v20, vcc
	v_not_b32_e32 v9, v16
	v_and_b32_e32 v17, 0, v3
	v_add_u32_e32 v3, 19, v1
	v_and_b32_e32 v16, v20, v9
	v_lshlrev_b64 v[32:33], v3, 1
	v_cmp_eq_u64_e64 s[0:1], v[16:17], v[32:33]
	v_lshrrev_b64 v[16:17], v1, v[20:21]
	v_mov_b32_e32 v3, 0xffffff89
	v_and_b32_e32 v20, 0x100000, v16
	v_mov_b32_e32 v21, 0
	v_cndmask_b32_e32 v3, v11, v3, vcc
	v_cmp_eq_u64_e32 vcc, 0, v[20:21]
	v_lshrrev_b32_e32 v9, 23, v16
	s_and_b64 vcc, vcc, s[0:1]
	v_add3_u32 v3, v3, v1, v9
	v_subbrev_co_u32_e32 v1, vcc, 0, v16, vcc
	v_and_b32_e32 v1, 0xfffff, v1
	v_add_co_u32_e32 v16, vcc, v1, v16
	v_add_u32_e32 v9, -1, v3
	v_addc_co_u32_e32 v17, vcc, 0, v17, vcc
	v_cmp_ne_u32_e32 vcc, 0, v9
                                        ; implicit-def: $vgpr1
	s_and_saveexec_b64 s[0:1], vcc
	s_xor_b64 s[0:1], exec, s[0:1]
; %bb.238:
	v_and_b32_e32 v20, 0x1000000, v16
	v_cmp_eq_u64_e32 vcc, 0, v[20:21]
	v_cndmask_b32_e32 v1, v3, v9, vcc
	v_bfe_u32 v3, v16, 24, 1
	v_lshrrev_b64 v[16:17], v3, v[16:17]
; %bb.239:
	s_andn2_saveexec_b64 s[0:1], s[0:1]
; %bb.240:
	v_bfe_u32 v1, v16, 23, 1
; %bb.241:
	s_or_b64 exec, exec, s[0:1]
	v_lshrrev_b64 v[16:17], 20, v[16:17]
	v_cmp_gt_i32_e32 vcc, 16, v1
	v_cndmask_b32_e32 v21, 0, v17, vcc
	v_cndmask_b32_e32 v20, 7, v16, vcc
	v_cmp_ne_u32_e32 vcc, 0, v1
	v_cmp_ne_u64_e64 s[0:1], 0, v[20:21]
	s_or_b64 s[0:1], vcc, s[0:1]
                                        ; implicit-def: $vgpr16_vgpr17
	s_and_saveexec_b64 s[14:15], s[0:1]
	s_xor_b64 s[0:1], exec, s[14:15]
; %bb.242:
	v_min_i32_e32 v1, 15, v1
	v_lshl_or_b32 v1, v1, 3, v18
	v_and_or_b32 v16, v20, 7, v1
                                        ; implicit-def: $vgpr18
; %bb.243:
	s_andn2_saveexec_b64 s[0:1], s[0:1]
; %bb.244:
	v_pk_mov_b32 v[16:17], v[18:19], v[18:19] op_sel:[0,1]
; %bb.245:
	s_or_b64 exec, exec, s[0:1]
.LBB3_246:
	s_or_b64 exec, exec, s[12:13]
.LBB3_247:
	s_andn2_saveexec_b64 s[0:1], s[8:9]
	s_or_b64 exec, exec, s[0:1]
                                        ; implicit-def: $vgpr1
                                        ; implicit-def: $vgpr20_vgpr21
.LBB3_248:
	s_andn2_saveexec_b64 s[0:1], s[6:7]
; %bb.249:
	s_movk_i32 s6, 0x7f
	v_or_b32_sdwa v1, v1, s6 dst_sel:DWORD dst_unused:UNUSED_PAD src0_sel:BYTE_3 src1_sel:DWORD
	v_cmp_eq_u64_e32 vcc, 0, v[20:21]
	v_cndmask_b32_e32 v16, v1, v16, vcc
; %bb.250:
	s_or_b64 exec, exec, s[0:1]
	v_mul_f32_e32 v1, v23, v30
	v_fmac_f32_e32 v1, v28, v29
	v_mul_f32_e32 v1, v22, v1
	v_min_f32_e32 v1, 0x43e00000, v1
	v_max_f32_e32 v1, 0xc3e00000, v1
	v_mov_b32_e32 v23, 0
	s_movk_i32 s0, 0x80
	v_and_b32_sdwa v18, v1, s0 dst_sel:DWORD dst_unused:UNUSED_PAD src0_sel:BYTE_3 src1_sel:DWORD
	v_and_b32_e32 v28, 0x7f800000, v1
	v_mov_b32_e32 v29, v23
	s_mov_b64 s[0:1], 0x7f800000
	v_and_b32_e32 v22, 0x7fffff, v1
	v_or_b32_e32 v20, 0x7e, v18
	v_cmp_ne_u64_e32 vcc, s[0:1], v[28:29]
	s_and_saveexec_b64 s[0:1], vcc
	s_xor_b64 s[6:7], exec, s[0:1]
	s_cbranch_execz .LBB3_264
; %bb.251:
	v_and_b32_e32 v28, 0x7fffffff, v1
	v_mov_b32_e32 v29, v23
	s_mov_b64 s[0:1], 0x43e00001
	v_cmp_gt_u64_e32 vcc, s[0:1], v[28:29]
	s_and_saveexec_b64 s[0:1], vcc
	s_xor_b64 s[8:9], exec, s[0:1]
	s_cbranch_execz .LBB3_263
; %bb.252:
	v_cmp_ne_u32_e32 vcc, 0, v1
	v_pk_mov_b32 v[20:21], 0, 0
	s_and_saveexec_b64 s[12:13], vcc
	s_cbranch_execz .LBB3_262
; %bb.253:
	v_bfe_u32 v1, v1, 23, 8
	s_movk_i32 s0, 0x79
	v_sub_u32_e64 v3, s0, v1 clamp
	v_mov_b32_e32 v13, 0x78
	v_cmp_eq_u32_e32 vcc, 0, v1
	v_add_u32_e32 v11, 0xffffff88, v1
	v_cndmask_b32_e32 v1, v3, v13, vcc
	v_add_u32_e32 v3, 20, v1
	v_lshlrev_b64 v[20:21], v3, -1
	v_or_b32_e32 v9, 0x800000, v22
	v_not_b32_e32 v3, v21
	v_cndmask_b32_e32 v22, v9, v22, vcc
	v_not_b32_e32 v9, v20
	v_and_b32_e32 v21, 0, v3
	v_add_u32_e32 v3, 19, v1
	v_and_b32_e32 v20, v22, v9
	v_lshlrev_b64 v[28:29], v3, 1
	v_cmp_eq_u64_e64 s[0:1], v[20:21], v[28:29]
	v_lshrrev_b64 v[20:21], v1, v[22:23]
	v_mov_b32_e32 v3, 0xffffff89
	v_and_b32_e32 v22, 0x100000, v20
	v_mov_b32_e32 v23, 0
	v_cndmask_b32_e32 v3, v11, v3, vcc
	v_cmp_eq_u64_e32 vcc, 0, v[22:23]
	v_lshrrev_b32_e32 v9, 23, v20
	s_and_b64 vcc, vcc, s[0:1]
	v_add3_u32 v3, v3, v1, v9
	v_subbrev_co_u32_e32 v1, vcc, 0, v20, vcc
	v_and_b32_e32 v1, 0xfffff, v1
	v_add_co_u32_e32 v20, vcc, v1, v20
	v_add_u32_e32 v9, -1, v3
	v_addc_co_u32_e32 v21, vcc, 0, v21, vcc
	v_cmp_ne_u32_e32 vcc, 0, v9
                                        ; implicit-def: $vgpr1
	s_and_saveexec_b64 s[0:1], vcc
	s_xor_b64 s[0:1], exec, s[0:1]
; %bb.254:
	v_and_b32_e32 v22, 0x1000000, v20
	v_cmp_eq_u64_e32 vcc, 0, v[22:23]
	v_cndmask_b32_e32 v1, v3, v9, vcc
	v_bfe_u32 v3, v20, 24, 1
	v_lshrrev_b64 v[20:21], v3, v[20:21]
; %bb.255:
	s_andn2_saveexec_b64 s[0:1], s[0:1]
; %bb.256:
	v_bfe_u32 v1, v20, 23, 1
; %bb.257:
	s_or_b64 exec, exec, s[0:1]
	v_lshrrev_b64 v[20:21], 20, v[20:21]
	v_cmp_gt_i32_e32 vcc, 16, v1
	v_cndmask_b32_e32 v23, 0, v21, vcc
	v_cndmask_b32_e32 v22, 7, v20, vcc
	v_cmp_ne_u32_e32 vcc, 0, v1
	v_cmp_ne_u64_e64 s[0:1], 0, v[22:23]
	s_or_b64 s[0:1], vcc, s[0:1]
                                        ; implicit-def: $vgpr20_vgpr21
	s_and_saveexec_b64 s[14:15], s[0:1]
	s_xor_b64 s[0:1], exec, s[14:15]
; %bb.258:
	v_min_i32_e32 v1, 15, v1
	v_lshl_or_b32 v1, v1, 3, v18
	v_and_or_b32 v20, v22, 7, v1
                                        ; implicit-def: $vgpr18
; %bb.259:
	s_andn2_saveexec_b64 s[0:1], s[0:1]
; %bb.260:
	v_pk_mov_b32 v[20:21], v[18:19], v[18:19] op_sel:[0,1]
; %bb.261:
	s_or_b64 exec, exec, s[0:1]
.LBB3_262:
	s_or_b64 exec, exec, s[12:13]
.LBB3_263:
	s_andn2_saveexec_b64 s[0:1], s[8:9]
	s_or_b64 exec, exec, s[0:1]
                                        ; implicit-def: $vgpr1
                                        ; implicit-def: $vgpr22_vgpr23
.LBB3_264:
	s_andn2_saveexec_b64 s[0:1], s[6:7]
; %bb.265:
	s_movk_i32 s6, 0x7f
	v_or_b32_sdwa v1, v1, s6 dst_sel:DWORD dst_unused:UNUSED_PAD src0_sel:BYTE_3 src1_sel:DWORD
	v_cmp_eq_u64_e32 vcc, 0, v[22:23]
	v_cndmask_b32_e32 v20, v1, v20, vcc
; %bb.266:
	s_or_b64 exec, exec, s[0:1]
	v_lshlrev_b32_e32 v3, 16, v16
	v_lshlrev_b32_e32 v1, 24, v20
	v_and_b32_e32 v3, 0xff0000, v3
	v_or_b32_e32 v1, v1, v3
	v_lshlrev_b32_e32 v3, 8, v14
	v_lshlrev_b64 v[18:19], 3, v[4:5]
	v_and_b32_e32 v3, 0xff00, v3
	v_and_b32_e32 v5, 0xff, v12
	v_or3_b32 v1, v1, v3, v5
	v_lshlrev_b32_e32 v3, 16, v8
	s_mov_b32 s1, 0x4020c0c
	s_mov_b32 s0, 0xff00
	v_lshlrev_b32_e32 v2, 8, v2
	v_perm_b32 v3, v10, v3, s1
	v_add_co_u32_e32 v18, vcc, v24, v18
	v_and_or_b32 v2, v2, s0, v3
	v_addc_co_u32_e32 v19, vcc, v25, v19, vcc
	v_or_b32_sdwa v0, v2, v0 dst_sel:DWORD dst_unused:UNUSED_PAD src0_sel:DWORD src1_sel:BYTE_0
	global_store_dwordx2 v[18:19], v[0:1], off
.LBB3_267:
	s_or_b64 exec, exec, s[4:5]
	s_cmp_lg_u64 s[10:11], 0
	s_cselect_b64 s[0:1], -1, 0
	v_cmp_eq_u32_e32 vcc, 0, v4
	s_and_b64 s[0:1], s[0:1], vcc
	s_and_saveexec_b64 s[4:5], s[0:1]
	s_cbranch_execz .LBB3_269
; %bb.268:
	s_mov_b32 s0, 0x800000
	v_mov_b32_e32 v0, 0x4f800000
	v_cmp_gt_f32_e32 vcc, s0, v27
	v_cndmask_b32_e32 v0, 1.0, v0, vcc
	v_mul_f32_e32 v0, v27, v0
	v_log_f32_e32 v2, v0
	v_mov_b32_e32 v1, s11
	v_add_co_u32_e64 v0, s[0:1], s10, v6
	v_addc_co_u32_e64 v1, s[0:1], v1, v7, s[0:1]
	s_mov_b32 s0, 0x3f317217
	v_mul_f32_e32 v3, 0x3f317217, v2
	v_fma_f32 v4, v2, s0, -v3
	v_fmac_f32_e32 v4, 0x3377d1cf, v2
	s_mov_b32 s0, 0x7f800000
	v_add_f32_e32 v3, v3, v4
	v_cmp_lt_f32_e64 s[0:1], |v2|, s0
	v_cndmask_b32_e64 v2, v2, v3, s[0:1]
	v_mov_b32_e32 v3, 0x41b17218
	v_cndmask_b32_e32 v3, 0, v3, vcc
	v_sub_f32_e32 v2, v2, v3
	v_add_f32_e32 v2, v26, v2
	global_store_dword v[0:1], v2, off
.LBB3_269:
	s_or_b64 exec, exec, s[4:5]
                                        ; implicit-def: $vgpr26
                                        ; implicit-def: $vgpr6_vgpr7
                                        ; implicit-def: $vgpr0
                                        ; implicit-def: $vgpr1
                                        ; implicit-def: $vgpr4
                                        ; implicit-def: $vgpr5
                                        ; implicit-def: $vgpr22
                                        ; implicit-def: $vgpr24
                                        ; implicit-def: $vgpr25
.LBB3_270:
	s_andn2_saveexec_b64 s[0:1], s[2:3]
	s_cbranch_execz .LBB3_403
; %bb.271:
	v_cmp_gt_u32_e32 vcc, s18, v5
	s_and_saveexec_b64 s[2:3], vcc
	s_cbranch_execz .LBB3_401
; %bb.272:
	v_mov_b32_e32 v5, 0
	v_lshlrev_b64 v[2:3], 4, v[4:5]
	v_add_co_u32_e32 v0, vcc, v0, v2
	v_addc_co_u32_e32 v1, vcc, v1, v3, vcc
	global_load_dwordx4 v[0:3], v[0:1], off
	s_movk_i32 s4, 0x80
	s_mov_b64 s[0:1], 0x7f800000
	v_mov_b32_e32 v15, v5
	v_mov_b32_e32 v13, v5
	s_waitcnt vmcnt(0)
	v_and_b32_e32 v8, 0xffff, v0
	;;#ASMSTART
	v_cvt_f32_f16 v8, v8;
	;;#ASMEND
	v_mul_f32_e32 v8, v22, v8
	v_min_f32_e32 v8, 0x43e00000, v8
	v_max_f32_e32 v11, 0xc3e00000, v8
	v_and_b32_sdwa v10, v11, s4 dst_sel:DWORD dst_unused:UNUSED_PAD src0_sel:BYTE_3 src1_sel:DWORD
	v_and_b32_e32 v14, 0x7f800000, v11
	v_and_b32_e32 v12, 0x7fffff, v11
	v_or_b32_e32 v8, 0x7e, v10
	v_cmp_ne_u64_e32 vcc, s[0:1], v[14:15]
	s_and_saveexec_b64 s[0:1], vcc
	s_xor_b64 s[4:5], exec, s[0:1]
	s_cbranch_execz .LBB3_286
; %bb.273:
	v_and_b32_e32 v14, 0x7fffffff, v11
	v_mov_b32_e32 v15, v5
	s_mov_b64 s[0:1], 0x43e00001
	v_cmp_gt_u64_e32 vcc, s[0:1], v[14:15]
	s_and_saveexec_b64 s[0:1], vcc
	s_xor_b64 s[6:7], exec, s[0:1]
	s_cbranch_execz .LBB3_285
; %bb.274:
	v_cmp_ne_u32_e32 vcc, 0, v11
	v_pk_mov_b32 v[8:9], 0, 0
	s_and_saveexec_b64 s[8:9], vcc
	s_cbranch_execz .LBB3_284
; %bb.275:
	v_bfe_u32 v8, v11, 23, 8
	s_movk_i32 s0, 0x79
	v_sub_u32_e64 v9, s0, v8 clamp
	v_mov_b32_e32 v14, 0x78
	v_cmp_eq_u32_e32 vcc, 0, v8
	v_cndmask_b32_e32 v17, v9, v14, vcc
	v_add_u32_e32 v16, 0xffffff88, v8
	v_add_u32_e32 v8, 20, v17
	v_or_b32_e32 v11, 0x800000, v12
	v_lshlrev_b64 v[8:9], v8, -1
	v_cndmask_b32_e32 v12, v11, v12, vcc
	v_not_b32_e32 v9, v9
	v_not_b32_e32 v8, v8
	v_add_u32_e32 v11, 19, v17
	v_and_b32_e32 v9, 0, v9
	v_and_b32_e32 v8, v12, v8
	v_lshlrev_b64 v[14:15], v11, 1
	v_cmp_eq_u64_e64 s[0:1], v[8:9], v[14:15]
	v_lshrrev_b64 v[8:9], v17, v[12:13]
	v_mov_b32_e32 v11, 0xffffff89
	v_cndmask_b32_e32 v11, v16, v11, vcc
	v_lshrrev_b32_e32 v12, 23, v8
	v_add3_u32 v14, v11, v17, v12
	v_and_b32_e32 v12, 0x100000, v8
	v_mov_b32_e32 v13, 0
	v_cmp_eq_u64_e32 vcc, 0, v[12:13]
	s_and_b64 vcc, vcc, s[0:1]
	v_subbrev_co_u32_e32 v11, vcc, 0, v8, vcc
	v_and_b32_e32 v11, 0xfffff, v11
	v_add_co_u32_e32 v8, vcc, v11, v8
	v_add_u32_e32 v15, -1, v14
	v_addc_co_u32_e32 v9, vcc, 0, v9, vcc
	v_cmp_ne_u32_e32 vcc, 0, v15
                                        ; implicit-def: $vgpr11
	s_and_saveexec_b64 s[0:1], vcc
	s_xor_b64 s[0:1], exec, s[0:1]
; %bb.276:
	v_and_b32_e32 v12, 0x1000000, v8
	v_cmp_eq_u64_e32 vcc, 0, v[12:13]
	v_bfe_u32 v12, v8, 24, 1
	v_cndmask_b32_e32 v11, v14, v15, vcc
	v_lshrrev_b64 v[8:9], v12, v[8:9]
; %bb.277:
	s_andn2_saveexec_b64 s[0:1], s[0:1]
; %bb.278:
	v_bfe_u32 v11, v8, 23, 1
; %bb.279:
	s_or_b64 exec, exec, s[0:1]
	v_lshrrev_b64 v[8:9], 20, v[8:9]
	v_cmp_gt_i32_e32 vcc, 16, v11
	v_cndmask_b32_e32 v13, 0, v9, vcc
	v_cndmask_b32_e32 v12, 7, v8, vcc
	v_cmp_ne_u32_e32 vcc, 0, v11
	v_cmp_ne_u64_e64 s[0:1], 0, v[12:13]
	s_or_b64 s[0:1], vcc, s[0:1]
                                        ; implicit-def: $vgpr8_vgpr9
	s_and_saveexec_b64 s[12:13], s[0:1]
	s_xor_b64 s[0:1], exec, s[12:13]
; %bb.280:
	v_min_i32_e32 v8, 15, v11
	v_lshl_or_b32 v8, v8, 3, v10
	v_and_or_b32 v8, v12, 7, v8
                                        ; implicit-def: $vgpr10
; %bb.281:
	s_andn2_saveexec_b64 s[0:1], s[0:1]
; %bb.282:
	v_pk_mov_b32 v[8:9], v[10:11], v[10:11] op_sel:[0,1]
; %bb.283:
	s_or_b64 exec, exec, s[0:1]
.LBB3_284:
	s_or_b64 exec, exec, s[8:9]
.LBB3_285:
	s_andn2_saveexec_b64 s[0:1], s[6:7]
	s_or_b64 exec, exec, s[0:1]
                                        ; implicit-def: $vgpr11
                                        ; implicit-def: $vgpr12_vgpr13
.LBB3_286:
	s_andn2_saveexec_b64 s[0:1], s[4:5]
; %bb.287:
	s_movk_i32 s4, 0x7f
	v_or_b32_sdwa v9, v11, s4 dst_sel:DWORD dst_unused:UNUSED_PAD src0_sel:BYTE_3 src1_sel:DWORD
	v_cmp_eq_u64_e32 vcc, 0, v[12:13]
	v_cndmask_b32_e32 v8, v9, v8, vcc
; %bb.288:
	s_or_b64 exec, exec, s[0:1]
	v_lshrrev_b32_e32 v0, 16, v0
	;;#ASMSTART
	v_cvt_f32_f16 v0, v0;
	;;#ASMEND
	v_mul_f32_e32 v0, v22, v0
	v_min_f32_e32 v0, 0x43e00000, v0
	v_max_f32_e32 v9, 0xc3e00000, v0
	v_mov_b32_e32 v13, 0
	s_movk_i32 s0, 0x80
	v_and_b32_sdwa v0, v9, s0 dst_sel:DWORD dst_unused:UNUSED_PAD src0_sel:BYTE_3 src1_sel:DWORD
	v_and_b32_e32 v14, 0x7f800000, v9
	v_mov_b32_e32 v15, v13
	s_mov_b64 s[0:1], 0x7f800000
	v_and_b32_e32 v12, 0x7fffff, v9
	v_or_b32_e32 v10, 0x7e, v0
	v_cmp_ne_u64_e32 vcc, s[0:1], v[14:15]
	s_and_saveexec_b64 s[0:1], vcc
	s_xor_b64 s[4:5], exec, s[0:1]
	s_cbranch_execz .LBB3_302
; %bb.289:
	v_and_b32_e32 v14, 0x7fffffff, v9
	v_mov_b32_e32 v15, v13
	s_mov_b64 s[0:1], 0x43e00001
	v_cmp_gt_u64_e32 vcc, s[0:1], v[14:15]
	s_and_saveexec_b64 s[0:1], vcc
	s_xor_b64 s[6:7], exec, s[0:1]
	s_cbranch_execz .LBB3_301
; %bb.290:
	v_cmp_ne_u32_e32 vcc, 0, v9
	v_pk_mov_b32 v[10:11], 0, 0
	s_and_saveexec_b64 s[8:9], vcc
	s_cbranch_execz .LBB3_300
; %bb.291:
	v_bfe_u32 v9, v9, 23, 8
	s_movk_i32 s0, 0x79
	v_sub_u32_e64 v10, s0, v9 clamp
	v_mov_b32_e32 v14, 0x78
	v_cmp_eq_u32_e32 vcc, 0, v9
	v_add_u32_e32 v16, 0xffffff88, v9
	v_cndmask_b32_e32 v9, v10, v14, vcc
	v_or_b32_e32 v11, 0x800000, v12
	v_add_u32_e32 v10, 20, v9
	v_cndmask_b32_e32 v12, v11, v12, vcc
	v_lshlrev_b64 v[10:11], v10, -1
	v_not_b32_e32 v11, v11
	v_not_b32_e32 v10, v10
	v_add_u32_e32 v14, 19, v9
	v_and_b32_e32 v11, 0, v11
	v_and_b32_e32 v10, v12, v10
	v_lshlrev_b64 v[14:15], v14, 1
	v_cmp_eq_u64_e64 s[0:1], v[10:11], v[14:15]
	v_lshrrev_b64 v[10:11], v9, v[12:13]
	v_mov_b32_e32 v12, 0xffffff89
	v_cndmask_b32_e32 v12, v16, v12, vcc
	v_lshrrev_b32_e32 v13, 23, v10
	v_add3_u32 v14, v12, v9, v13
	v_and_b32_e32 v12, 0x100000, v10
	v_mov_b32_e32 v13, 0
	v_cmp_eq_u64_e32 vcc, 0, v[12:13]
	s_and_b64 vcc, vcc, s[0:1]
	v_subbrev_co_u32_e32 v9, vcc, 0, v10, vcc
	v_and_b32_e32 v9, 0xfffff, v9
	v_add_co_u32_e32 v10, vcc, v9, v10
	v_add_u32_e32 v15, -1, v14
	v_addc_co_u32_e32 v11, vcc, 0, v11, vcc
	v_cmp_ne_u32_e32 vcc, 0, v15
                                        ; implicit-def: $vgpr9
	s_and_saveexec_b64 s[0:1], vcc
	s_xor_b64 s[0:1], exec, s[0:1]
; %bb.292:
	v_and_b32_e32 v12, 0x1000000, v10
	v_cmp_eq_u64_e32 vcc, 0, v[12:13]
	v_bfe_u32 v12, v10, 24, 1
	v_cndmask_b32_e32 v9, v14, v15, vcc
	v_lshrrev_b64 v[10:11], v12, v[10:11]
; %bb.293:
	s_andn2_saveexec_b64 s[0:1], s[0:1]
; %bb.294:
	v_bfe_u32 v9, v10, 23, 1
; %bb.295:
	s_or_b64 exec, exec, s[0:1]
	v_lshrrev_b64 v[10:11], 20, v[10:11]
	v_cmp_gt_i32_e32 vcc, 16, v9
	v_cndmask_b32_e32 v13, 0, v11, vcc
	v_cndmask_b32_e32 v12, 7, v10, vcc
	v_cmp_ne_u32_e32 vcc, 0, v9
	v_cmp_ne_u64_e64 s[0:1], 0, v[12:13]
	s_or_b64 s[0:1], vcc, s[0:1]
                                        ; implicit-def: $vgpr10_vgpr11
	s_and_saveexec_b64 s[12:13], s[0:1]
	s_xor_b64 s[0:1], exec, s[12:13]
; %bb.296:
	v_min_i32_e32 v9, 15, v9
	v_lshl_or_b32 v0, v9, 3, v0
	v_and_or_b32 v10, v12, 7, v0
                                        ; implicit-def: $vgpr0
; %bb.297:
	s_andn2_saveexec_b64 s[0:1], s[0:1]
; %bb.298:
	v_pk_mov_b32 v[10:11], v[0:1], v[0:1] op_sel:[0,1]
; %bb.299:
	s_or_b64 exec, exec, s[0:1]
.LBB3_300:
	s_or_b64 exec, exec, s[8:9]
.LBB3_301:
	s_andn2_saveexec_b64 s[0:1], s[6:7]
	s_or_b64 exec, exec, s[0:1]
                                        ; implicit-def: $vgpr9
                                        ; implicit-def: $vgpr12_vgpr13
.LBB3_302:
	s_andn2_saveexec_b64 s[0:1], s[4:5]
; %bb.303:
	s_movk_i32 s4, 0x7f
	v_or_b32_sdwa v0, v9, s4 dst_sel:DWORD dst_unused:UNUSED_PAD src0_sel:BYTE_3 src1_sel:DWORD
	v_cmp_eq_u64_e32 vcc, 0, v[12:13]
	v_cndmask_b32_e32 v10, v0, v10, vcc
; %bb.304:
	s_or_b64 exec, exec, s[0:1]
	v_and_b32_e32 v0, 0xffff, v1
	;;#ASMSTART
	v_cvt_f32_f16 v0, v0;
	;;#ASMEND
	v_mul_f32_e32 v0, v22, v0
	v_min_f32_e32 v0, 0x43e00000, v0
	v_max_f32_e32 v9, 0xc3e00000, v0
	v_mov_b32_e32 v15, 0
	s_movk_i32 s0, 0x80
	v_and_b32_sdwa v0, v9, s0 dst_sel:DWORD dst_unused:UNUSED_PAD src0_sel:BYTE_3 src1_sel:DWORD
	v_and_b32_e32 v16, 0x7f800000, v9
	v_mov_b32_e32 v17, v15
	s_mov_b64 s[0:1], 0x7f800000
	v_and_b32_e32 v14, 0x7fffff, v9
	v_or_b32_e32 v12, 0x7e, v0
	v_cmp_ne_u64_e32 vcc, s[0:1], v[16:17]
	s_and_saveexec_b64 s[0:1], vcc
	s_xor_b64 s[4:5], exec, s[0:1]
	s_cbranch_execz .LBB3_318
; %bb.305:
	v_and_b32_e32 v16, 0x7fffffff, v9
	v_mov_b32_e32 v17, v15
	s_mov_b64 s[0:1], 0x43e00001
	v_cmp_gt_u64_e32 vcc, s[0:1], v[16:17]
	s_and_saveexec_b64 s[0:1], vcc
	s_xor_b64 s[6:7], exec, s[0:1]
	s_cbranch_execz .LBB3_317
; %bb.306:
	v_cmp_ne_u32_e32 vcc, 0, v9
	v_pk_mov_b32 v[12:13], 0, 0
	s_and_saveexec_b64 s[8:9], vcc
	s_cbranch_execz .LBB3_316
; %bb.307:
	v_bfe_u32 v9, v9, 23, 8
	s_movk_i32 s0, 0x79
	v_sub_u32_e64 v11, s0, v9 clamp
	v_mov_b32_e32 v13, 0x78
	v_cmp_eq_u32_e32 vcc, 0, v9
	v_add_u32_e32 v18, 0xffffff88, v9
	v_cndmask_b32_e32 v9, v11, v13, vcc
	v_or_b32_e32 v12, 0x800000, v14
	v_add_u32_e32 v11, 20, v9
	v_cndmask_b32_e32 v14, v12, v14, vcc
	v_lshlrev_b64 v[12:13], v11, -1
	v_not_b32_e32 v11, v13
	v_not_b32_e32 v12, v12
	v_and_b32_e32 v13, 0, v11
	v_add_u32_e32 v11, 19, v9
	v_and_b32_e32 v12, v14, v12
	v_lshlrev_b64 v[16:17], v11, 1
	v_cmp_eq_u64_e64 s[0:1], v[12:13], v[16:17]
	v_lshrrev_b64 v[12:13], v9, v[14:15]
	v_mov_b32_e32 v11, 0xffffff89
	v_cndmask_b32_e32 v11, v18, v11, vcc
	v_lshrrev_b32_e32 v14, 23, v12
	v_add3_u32 v11, v11, v9, v14
	v_and_b32_e32 v14, 0x100000, v12
	v_mov_b32_e32 v15, 0
	v_cmp_eq_u64_e32 vcc, 0, v[14:15]
	s_and_b64 vcc, vcc, s[0:1]
	v_subbrev_co_u32_e32 v9, vcc, 0, v12, vcc
	v_and_b32_e32 v9, 0xfffff, v9
	v_add_co_u32_e32 v12, vcc, v9, v12
	v_add_u32_e32 v16, -1, v11
	v_addc_co_u32_e32 v13, vcc, 0, v13, vcc
	v_cmp_ne_u32_e32 vcc, 0, v16
                                        ; implicit-def: $vgpr9
	s_and_saveexec_b64 s[0:1], vcc
	s_xor_b64 s[0:1], exec, s[0:1]
; %bb.308:
	v_and_b32_e32 v14, 0x1000000, v12
	v_cmp_eq_u64_e32 vcc, 0, v[14:15]
	v_cndmask_b32_e32 v9, v11, v16, vcc
	v_bfe_u32 v11, v12, 24, 1
	v_lshrrev_b64 v[12:13], v11, v[12:13]
; %bb.309:
	s_andn2_saveexec_b64 s[0:1], s[0:1]
; %bb.310:
	v_bfe_u32 v9, v12, 23, 1
; %bb.311:
	s_or_b64 exec, exec, s[0:1]
	v_lshrrev_b64 v[12:13], 20, v[12:13]
	v_cmp_gt_i32_e32 vcc, 16, v9
	v_cndmask_b32_e32 v15, 0, v13, vcc
	v_cndmask_b32_e32 v14, 7, v12, vcc
	v_cmp_ne_u32_e32 vcc, 0, v9
	v_cmp_ne_u64_e64 s[0:1], 0, v[14:15]
	s_or_b64 s[0:1], vcc, s[0:1]
                                        ; implicit-def: $vgpr12_vgpr13
	s_and_saveexec_b64 s[12:13], s[0:1]
	s_xor_b64 s[0:1], exec, s[12:13]
; %bb.312:
	v_min_i32_e32 v9, 15, v9
	v_lshl_or_b32 v0, v9, 3, v0
	v_and_or_b32 v12, v14, 7, v0
                                        ; implicit-def: $vgpr0
; %bb.313:
	s_andn2_saveexec_b64 s[0:1], s[0:1]
; %bb.314:
	v_pk_mov_b32 v[12:13], v[0:1], v[0:1] op_sel:[0,1]
; %bb.315:
	s_or_b64 exec, exec, s[0:1]
.LBB3_316:
	s_or_b64 exec, exec, s[8:9]
.LBB3_317:
	s_andn2_saveexec_b64 s[0:1], s[6:7]
	s_or_b64 exec, exec, s[0:1]
                                        ; implicit-def: $vgpr9
                                        ; implicit-def: $vgpr14_vgpr15
.LBB3_318:
	s_andn2_saveexec_b64 s[0:1], s[4:5]
; %bb.319:
	s_movk_i32 s4, 0x7f
	v_or_b32_sdwa v0, v9, s4 dst_sel:DWORD dst_unused:UNUSED_PAD src0_sel:BYTE_3 src1_sel:DWORD
	v_cmp_eq_u64_e32 vcc, 0, v[14:15]
	v_cndmask_b32_e32 v12, v0, v12, vcc
; %bb.320:
	s_or_b64 exec, exec, s[0:1]
	v_lshrrev_b32_e32 v0, 16, v1
	;;#ASMSTART
	v_cvt_f32_f16 v0, v0;
	;;#ASMEND
	v_mul_f32_e32 v0, v22, v0
	v_min_f32_e32 v0, 0x43e00000, v0
	v_max_f32_e32 v9, 0xc3e00000, v0
	v_mov_b32_e32 v17, 0
	s_movk_i32 s0, 0x80
	v_and_b32_sdwa v14, v9, s0 dst_sel:DWORD dst_unused:UNUSED_PAD src0_sel:BYTE_3 src1_sel:DWORD
	v_and_b32_e32 v18, 0x7f800000, v9
	v_mov_b32_e32 v19, v17
	s_mov_b64 s[0:1], 0x7f800000
	v_and_b32_e32 v16, 0x7fffff, v9
	v_or_b32_e32 v0, 0x7e, v14
	v_cmp_ne_u64_e32 vcc, s[0:1], v[18:19]
	s_and_saveexec_b64 s[0:1], vcc
	s_xor_b64 s[4:5], exec, s[0:1]
	s_cbranch_execz .LBB3_334
; %bb.321:
	v_and_b32_e32 v18, 0x7fffffff, v9
	v_mov_b32_e32 v19, v17
	s_mov_b64 s[0:1], 0x43e00001
	v_cmp_gt_u64_e32 vcc, s[0:1], v[18:19]
	s_and_saveexec_b64 s[0:1], vcc
	s_xor_b64 s[6:7], exec, s[0:1]
	s_cbranch_execz .LBB3_333
; %bb.322:
	v_cmp_ne_u32_e32 vcc, 0, v9
	v_pk_mov_b32 v[0:1], 0, 0
	s_and_saveexec_b64 s[8:9], vcc
	s_cbranch_execz .LBB3_332
; %bb.323:
	v_bfe_u32 v0, v9, 23, 8
	s_movk_i32 s0, 0x79
	v_sub_u32_e64 v1, s0, v0 clamp
	v_mov_b32_e32 v13, 0x78
	v_cmp_eq_u32_e32 vcc, 0, v0
	v_cndmask_b32_e32 v13, v1, v13, vcc
	v_add_u32_e32 v11, 0xffffff88, v0
	v_add_u32_e32 v0, 20, v13
	v_or_b32_e32 v9, 0x800000, v16
	v_lshlrev_b64 v[0:1], v0, -1
	v_cndmask_b32_e32 v16, v9, v16, vcc
	v_not_b32_e32 v1, v1
	v_not_b32_e32 v0, v0
	v_add_u32_e32 v9, 19, v13
	v_and_b32_e32 v1, 0, v1
	v_and_b32_e32 v0, v16, v0
	v_lshlrev_b64 v[18:19], v9, 1
	v_cmp_eq_u64_e64 s[0:1], v[0:1], v[18:19]
	v_lshrrev_b64 v[0:1], v13, v[16:17]
	v_mov_b32_e32 v9, 0xffffff89
	v_and_b32_e32 v16, 0x100000, v0
	v_mov_b32_e32 v17, 0
	v_cndmask_b32_e32 v9, v11, v9, vcc
	v_cmp_eq_u64_e32 vcc, 0, v[16:17]
	v_lshrrev_b32_e32 v11, 23, v0
	s_and_b64 vcc, vcc, s[0:1]
	v_add3_u32 v11, v9, v13, v11
	v_subbrev_co_u32_e32 v9, vcc, 0, v0, vcc
	v_and_b32_e32 v9, 0xfffff, v9
	v_add_co_u32_e32 v0, vcc, v9, v0
	v_add_u32_e32 v13, -1, v11
	v_addc_co_u32_e32 v1, vcc, 0, v1, vcc
	v_cmp_ne_u32_e32 vcc, 0, v13
                                        ; implicit-def: $vgpr9
	s_and_saveexec_b64 s[0:1], vcc
	s_xor_b64 s[0:1], exec, s[0:1]
; %bb.324:
	v_and_b32_e32 v16, 0x1000000, v0
	v_cmp_eq_u64_e32 vcc, 0, v[16:17]
	v_cndmask_b32_e32 v9, v11, v13, vcc
	v_bfe_u32 v11, v0, 24, 1
	v_lshrrev_b64 v[0:1], v11, v[0:1]
; %bb.325:
	s_andn2_saveexec_b64 s[0:1], s[0:1]
; %bb.326:
	v_bfe_u32 v9, v0, 23, 1
; %bb.327:
	s_or_b64 exec, exec, s[0:1]
	v_lshrrev_b64 v[0:1], 20, v[0:1]
	v_cmp_gt_i32_e32 vcc, 16, v9
	v_cndmask_b32_e32 v17, 0, v1, vcc
	v_cndmask_b32_e32 v16, 7, v0, vcc
	v_cmp_ne_u32_e32 vcc, 0, v9
	v_cmp_ne_u64_e64 s[0:1], 0, v[16:17]
	s_or_b64 s[0:1], vcc, s[0:1]
                                        ; implicit-def: $vgpr0_vgpr1
	s_and_saveexec_b64 s[12:13], s[0:1]
	s_xor_b64 s[0:1], exec, s[12:13]
; %bb.328:
	v_min_i32_e32 v0, 15, v9
	v_lshl_or_b32 v0, v0, 3, v14
	v_and_or_b32 v0, v16, 7, v0
                                        ; implicit-def: $vgpr14
; %bb.329:
	s_andn2_saveexec_b64 s[0:1], s[0:1]
; %bb.330:
	v_pk_mov_b32 v[0:1], v[14:15], v[14:15] op_sel:[0,1]
; %bb.331:
	s_or_b64 exec, exec, s[0:1]
.LBB3_332:
	s_or_b64 exec, exec, s[8:9]
.LBB3_333:
	s_andn2_saveexec_b64 s[0:1], s[6:7]
	s_or_b64 exec, exec, s[0:1]
                                        ; implicit-def: $vgpr9
                                        ; implicit-def: $vgpr16_vgpr17
.LBB3_334:
	s_andn2_saveexec_b64 s[0:1], s[4:5]
; %bb.335:
	s_movk_i32 s4, 0x7f
	v_or_b32_sdwa v1, v9, s4 dst_sel:DWORD dst_unused:UNUSED_PAD src0_sel:BYTE_3 src1_sel:DWORD
	v_cmp_eq_u64_e32 vcc, 0, v[16:17]
	v_cndmask_b32_e32 v0, v1, v0, vcc
; %bb.336:
	s_or_b64 exec, exec, s[0:1]
	v_and_b32_e32 v1, 0xffff, v2
	;;#ASMSTART
	v_cvt_f32_f16 v1, v1;
	;;#ASMEND
	v_mul_f32_e32 v1, v22, v1
	v_min_f32_e32 v1, 0x43e00000, v1
	v_max_f32_e32 v1, 0xc3e00000, v1
	v_mov_b32_e32 v19, 0
	s_movk_i32 s0, 0x80
	v_and_b32_sdwa v16, v1, s0 dst_sel:DWORD dst_unused:UNUSED_PAD src0_sel:BYTE_3 src1_sel:DWORD
	v_and_b32_e32 v20, 0x7f800000, v1
	v_mov_b32_e32 v21, v19
	s_mov_b64 s[0:1], 0x7f800000
	v_and_b32_e32 v18, 0x7fffff, v1
	v_or_b32_e32 v14, 0x7e, v16
	v_cmp_ne_u64_e32 vcc, s[0:1], v[20:21]
	s_and_saveexec_b64 s[0:1], vcc
	s_xor_b64 s[4:5], exec, s[0:1]
	s_cbranch_execz .LBB3_350
; %bb.337:
	v_and_b32_e32 v20, 0x7fffffff, v1
	v_mov_b32_e32 v21, v19
	s_mov_b64 s[0:1], 0x43e00001
	v_cmp_gt_u64_e32 vcc, s[0:1], v[20:21]
	s_and_saveexec_b64 s[0:1], vcc
	s_xor_b64 s[6:7], exec, s[0:1]
	s_cbranch_execz .LBB3_349
; %bb.338:
	v_cmp_ne_u32_e32 vcc, 0, v1
	v_pk_mov_b32 v[14:15], 0, 0
	s_and_saveexec_b64 s[8:9], vcc
	s_cbranch_execz .LBB3_348
; %bb.339:
	v_bfe_u32 v1, v1, 23, 8
	s_movk_i32 s0, 0x79
	v_sub_u32_e64 v9, s0, v1 clamp
	v_mov_b32_e32 v14, 0x78
	v_cmp_eq_u32_e32 vcc, 0, v1
	v_add_u32_e32 v13, 0xffffff88, v1
	v_cndmask_b32_e32 v1, v9, v14, vcc
	v_add_u32_e32 v9, 20, v1
	v_lshlrev_b64 v[14:15], v9, -1
	v_or_b32_e32 v11, 0x800000, v18
	v_not_b32_e32 v9, v15
	v_cndmask_b32_e32 v18, v11, v18, vcc
	v_not_b32_e32 v11, v14
	v_and_b32_e32 v15, 0, v9
	v_add_u32_e32 v9, 19, v1
	v_and_b32_e32 v14, v18, v11
	v_lshlrev_b64 v[20:21], v9, 1
	v_cmp_eq_u64_e64 s[0:1], v[14:15], v[20:21]
	v_lshrrev_b64 v[14:15], v1, v[18:19]
	v_mov_b32_e32 v9, 0xffffff89
	v_and_b32_e32 v18, 0x100000, v14
	v_mov_b32_e32 v19, 0
	v_cndmask_b32_e32 v9, v13, v9, vcc
	v_cmp_eq_u64_e32 vcc, 0, v[18:19]
	v_lshrrev_b32_e32 v11, 23, v14
	s_and_b64 vcc, vcc, s[0:1]
	v_add3_u32 v9, v9, v1, v11
	v_subbrev_co_u32_e32 v1, vcc, 0, v14, vcc
	v_and_b32_e32 v1, 0xfffff, v1
	v_add_co_u32_e32 v14, vcc, v1, v14
	v_add_u32_e32 v11, -1, v9
	v_addc_co_u32_e32 v15, vcc, 0, v15, vcc
	v_cmp_ne_u32_e32 vcc, 0, v11
                                        ; implicit-def: $vgpr1
	s_and_saveexec_b64 s[0:1], vcc
	s_xor_b64 s[0:1], exec, s[0:1]
; %bb.340:
	v_and_b32_e32 v18, 0x1000000, v14
	v_cmp_eq_u64_e32 vcc, 0, v[18:19]
	v_cndmask_b32_e32 v1, v9, v11, vcc
	v_bfe_u32 v9, v14, 24, 1
	v_lshrrev_b64 v[14:15], v9, v[14:15]
; %bb.341:
	s_andn2_saveexec_b64 s[0:1], s[0:1]
; %bb.342:
	v_bfe_u32 v1, v14, 23, 1
; %bb.343:
	s_or_b64 exec, exec, s[0:1]
	v_lshrrev_b64 v[14:15], 20, v[14:15]
	v_cmp_gt_i32_e32 vcc, 16, v1
	v_cndmask_b32_e32 v19, 0, v15, vcc
	v_cndmask_b32_e32 v18, 7, v14, vcc
	v_cmp_ne_u32_e32 vcc, 0, v1
	v_cmp_ne_u64_e64 s[0:1], 0, v[18:19]
	s_or_b64 s[0:1], vcc, s[0:1]
                                        ; implicit-def: $vgpr14_vgpr15
	s_and_saveexec_b64 s[12:13], s[0:1]
	s_xor_b64 s[0:1], exec, s[12:13]
; %bb.344:
	v_min_i32_e32 v1, 15, v1
	v_lshl_or_b32 v1, v1, 3, v16
	v_and_or_b32 v14, v18, 7, v1
                                        ; implicit-def: $vgpr16
; %bb.345:
	s_andn2_saveexec_b64 s[0:1], s[0:1]
; %bb.346:
	v_pk_mov_b32 v[14:15], v[16:17], v[16:17] op_sel:[0,1]
; %bb.347:
	s_or_b64 exec, exec, s[0:1]
.LBB3_348:
	s_or_b64 exec, exec, s[8:9]
.LBB3_349:
	s_andn2_saveexec_b64 s[0:1], s[6:7]
	s_or_b64 exec, exec, s[0:1]
                                        ; implicit-def: $vgpr1
                                        ; implicit-def: $vgpr18_vgpr19
.LBB3_350:
	s_andn2_saveexec_b64 s[0:1], s[4:5]
; %bb.351:
	s_movk_i32 s4, 0x7f
	v_or_b32_sdwa v1, v1, s4 dst_sel:DWORD dst_unused:UNUSED_PAD src0_sel:BYTE_3 src1_sel:DWORD
	v_cmp_eq_u64_e32 vcc, 0, v[18:19]
	v_cndmask_b32_e32 v14, v1, v14, vcc
; %bb.352:
	s_or_b64 exec, exec, s[0:1]
	v_lshrrev_b32_e32 v1, 16, v2
	;;#ASMSTART
	v_cvt_f32_f16 v1, v1;
	;;#ASMEND
	v_mul_f32_e32 v1, v22, v1
	v_min_f32_e32 v1, 0x43e00000, v1
	v_max_f32_e32 v1, 0xc3e00000, v1
	v_mov_b32_e32 v19, 0
	s_movk_i32 s0, 0x80
	v_and_b32_sdwa v2, v1, s0 dst_sel:DWORD dst_unused:UNUSED_PAD src0_sel:BYTE_3 src1_sel:DWORD
	v_and_b32_e32 v20, 0x7f800000, v1
	v_mov_b32_e32 v21, v19
	s_mov_b64 s[0:1], 0x7f800000
	v_and_b32_e32 v18, 0x7fffff, v1
	v_or_b32_e32 v16, 0x7e, v2
	v_cmp_ne_u64_e32 vcc, s[0:1], v[20:21]
	s_and_saveexec_b64 s[0:1], vcc
	s_xor_b64 s[4:5], exec, s[0:1]
	s_cbranch_execz .LBB3_366
; %bb.353:
	v_and_b32_e32 v20, 0x7fffffff, v1
	v_mov_b32_e32 v21, v19
	s_mov_b64 s[0:1], 0x43e00001
	v_cmp_gt_u64_e32 vcc, s[0:1], v[20:21]
	s_and_saveexec_b64 s[0:1], vcc
	s_xor_b64 s[6:7], exec, s[0:1]
	s_cbranch_execz .LBB3_365
; %bb.354:
	v_cmp_ne_u32_e32 vcc, 0, v1
	v_pk_mov_b32 v[16:17], 0, 0
	s_and_saveexec_b64 s[8:9], vcc
	s_cbranch_execz .LBB3_364
; %bb.355:
	v_bfe_u32 v1, v1, 23, 8
	s_movk_i32 s0, 0x79
	v_sub_u32_e64 v9, s0, v1 clamp
	v_mov_b32_e32 v15, 0x78
	v_cmp_eq_u32_e32 vcc, 0, v1
	v_add_u32_e32 v13, 0xffffff88, v1
	v_cndmask_b32_e32 v1, v9, v15, vcc
	v_add_u32_e32 v9, 20, v1
	v_lshlrev_b64 v[16:17], v9, -1
	v_or_b32_e32 v11, 0x800000, v18
	v_not_b32_e32 v9, v17
	v_cndmask_b32_e32 v18, v11, v18, vcc
	v_not_b32_e32 v11, v16
	v_and_b32_e32 v17, 0, v9
	v_add_u32_e32 v9, 19, v1
	v_and_b32_e32 v16, v18, v11
	v_lshlrev_b64 v[20:21], v9, 1
	v_cmp_eq_u64_e64 s[0:1], v[16:17], v[20:21]
	v_lshrrev_b64 v[16:17], v1, v[18:19]
	v_mov_b32_e32 v9, 0xffffff89
	v_and_b32_e32 v18, 0x100000, v16
	v_mov_b32_e32 v19, 0
	v_cndmask_b32_e32 v9, v13, v9, vcc
	v_cmp_eq_u64_e32 vcc, 0, v[18:19]
	v_lshrrev_b32_e32 v11, 23, v16
	s_and_b64 vcc, vcc, s[0:1]
	v_add3_u32 v9, v9, v1, v11
	v_subbrev_co_u32_e32 v1, vcc, 0, v16, vcc
	v_and_b32_e32 v1, 0xfffff, v1
	v_add_co_u32_e32 v16, vcc, v1, v16
	v_add_u32_e32 v11, -1, v9
	v_addc_co_u32_e32 v17, vcc, 0, v17, vcc
	v_cmp_ne_u32_e32 vcc, 0, v11
                                        ; implicit-def: $vgpr1
	s_and_saveexec_b64 s[0:1], vcc
	s_xor_b64 s[0:1], exec, s[0:1]
; %bb.356:
	v_and_b32_e32 v18, 0x1000000, v16
	v_cmp_eq_u64_e32 vcc, 0, v[18:19]
	v_cndmask_b32_e32 v1, v9, v11, vcc
	v_bfe_u32 v9, v16, 24, 1
	v_lshrrev_b64 v[16:17], v9, v[16:17]
; %bb.357:
	s_andn2_saveexec_b64 s[0:1], s[0:1]
; %bb.358:
	v_bfe_u32 v1, v16, 23, 1
; %bb.359:
	s_or_b64 exec, exec, s[0:1]
	v_lshrrev_b64 v[16:17], 20, v[16:17]
	v_cmp_gt_i32_e32 vcc, 16, v1
	v_cndmask_b32_e32 v19, 0, v17, vcc
	v_cndmask_b32_e32 v18, 7, v16, vcc
	v_cmp_ne_u32_e32 vcc, 0, v1
	v_cmp_ne_u64_e64 s[0:1], 0, v[18:19]
	s_or_b64 s[0:1], vcc, s[0:1]
                                        ; implicit-def: $vgpr16_vgpr17
	s_and_saveexec_b64 s[12:13], s[0:1]
	s_xor_b64 s[0:1], exec, s[12:13]
; %bb.360:
	v_min_i32_e32 v1, 15, v1
	v_lshl_or_b32 v1, v1, 3, v2
	v_and_or_b32 v16, v18, 7, v1
                                        ; implicit-def: $vgpr2
; %bb.361:
	s_andn2_saveexec_b64 s[0:1], s[0:1]
; %bb.362:
	v_pk_mov_b32 v[16:17], v[2:3], v[2:3] op_sel:[0,1]
; %bb.363:
	s_or_b64 exec, exec, s[0:1]
.LBB3_364:
	s_or_b64 exec, exec, s[8:9]
.LBB3_365:
	s_andn2_saveexec_b64 s[0:1], s[6:7]
	s_or_b64 exec, exec, s[0:1]
                                        ; implicit-def: $vgpr1
                                        ; implicit-def: $vgpr18_vgpr19
.LBB3_366:
	s_andn2_saveexec_b64 s[0:1], s[4:5]
; %bb.367:
	s_movk_i32 s4, 0x7f
	v_or_b32_sdwa v1, v1, s4 dst_sel:DWORD dst_unused:UNUSED_PAD src0_sel:BYTE_3 src1_sel:DWORD
	v_cmp_eq_u64_e32 vcc, 0, v[18:19]
	v_cndmask_b32_e32 v16, v1, v16, vcc
; %bb.368:
	s_or_b64 exec, exec, s[0:1]
	v_and_b32_e32 v1, 0xffff, v3
	;;#ASMSTART
	v_cvt_f32_f16 v1, v1;
	;;#ASMEND
	v_mul_f32_e32 v1, v22, v1
	v_min_f32_e32 v1, 0x43e00000, v1
	v_max_f32_e32 v1, 0xc3e00000, v1
	v_mov_b32_e32 v21, 0
	s_movk_i32 s0, 0x80
	v_and_b32_sdwa v2, v1, s0 dst_sel:DWORD dst_unused:UNUSED_PAD src0_sel:BYTE_3 src1_sel:DWORD
	v_and_b32_e32 v28, 0x7f800000, v1
	v_mov_b32_e32 v29, v21
	s_mov_b64 s[0:1], 0x7f800000
	v_and_b32_e32 v20, 0x7fffff, v1
	v_or_b32_e32 v18, 0x7e, v2
	v_cmp_ne_u64_e32 vcc, s[0:1], v[28:29]
	s_and_saveexec_b64 s[0:1], vcc
	s_xor_b64 s[4:5], exec, s[0:1]
	s_cbranch_execz .LBB3_382
; %bb.369:
	v_and_b32_e32 v28, 0x7fffffff, v1
	v_mov_b32_e32 v29, v21
	s_mov_b64 s[0:1], 0x43e00001
	v_cmp_gt_u64_e32 vcc, s[0:1], v[28:29]
	s_and_saveexec_b64 s[0:1], vcc
	s_xor_b64 s[6:7], exec, s[0:1]
	s_cbranch_execz .LBB3_381
; %bb.370:
	v_cmp_ne_u32_e32 vcc, 0, v1
	v_pk_mov_b32 v[18:19], 0, 0
	s_and_saveexec_b64 s[8:9], vcc
	s_cbranch_execz .LBB3_380
; %bb.371:
	v_bfe_u32 v1, v1, 23, 8
	s_movk_i32 s0, 0x79
	v_sub_u32_e64 v9, s0, v1 clamp
	v_mov_b32_e32 v15, 0x78
	v_cmp_eq_u32_e32 vcc, 0, v1
	v_add_u32_e32 v13, 0xffffff88, v1
	v_cndmask_b32_e32 v1, v9, v15, vcc
	v_add_u32_e32 v9, 20, v1
	v_lshlrev_b64 v[18:19], v9, -1
	v_or_b32_e32 v11, 0x800000, v20
	v_not_b32_e32 v9, v19
	v_cndmask_b32_e32 v20, v11, v20, vcc
	v_not_b32_e32 v11, v18
	v_and_b32_e32 v19, 0, v9
	v_add_u32_e32 v9, 19, v1
	v_and_b32_e32 v18, v20, v11
	v_lshlrev_b64 v[28:29], v9, 1
	v_cmp_eq_u64_e64 s[0:1], v[18:19], v[28:29]
	v_lshrrev_b64 v[18:19], v1, v[20:21]
	v_mov_b32_e32 v9, 0xffffff89
	v_and_b32_e32 v20, 0x100000, v18
	v_mov_b32_e32 v21, 0
	v_cndmask_b32_e32 v9, v13, v9, vcc
	v_cmp_eq_u64_e32 vcc, 0, v[20:21]
	v_lshrrev_b32_e32 v11, 23, v18
	s_and_b64 vcc, vcc, s[0:1]
	v_add3_u32 v9, v9, v1, v11
	v_subbrev_co_u32_e32 v1, vcc, 0, v18, vcc
	v_and_b32_e32 v1, 0xfffff, v1
	v_add_co_u32_e32 v18, vcc, v1, v18
	v_add_u32_e32 v11, -1, v9
	v_addc_co_u32_e32 v19, vcc, 0, v19, vcc
	v_cmp_ne_u32_e32 vcc, 0, v11
                                        ; implicit-def: $vgpr1
	s_and_saveexec_b64 s[0:1], vcc
	s_xor_b64 s[0:1], exec, s[0:1]
; %bb.372:
	v_and_b32_e32 v20, 0x1000000, v18
	v_cmp_eq_u64_e32 vcc, 0, v[20:21]
	v_cndmask_b32_e32 v1, v9, v11, vcc
	v_bfe_u32 v9, v18, 24, 1
	v_lshrrev_b64 v[18:19], v9, v[18:19]
; %bb.373:
	s_andn2_saveexec_b64 s[0:1], s[0:1]
; %bb.374:
	v_bfe_u32 v1, v18, 23, 1
; %bb.375:
	s_or_b64 exec, exec, s[0:1]
	v_lshrrev_b64 v[18:19], 20, v[18:19]
	v_cmp_gt_i32_e32 vcc, 16, v1
	v_cndmask_b32_e32 v21, 0, v19, vcc
	v_cndmask_b32_e32 v20, 7, v18, vcc
	v_cmp_ne_u32_e32 vcc, 0, v1
	v_cmp_ne_u64_e64 s[0:1], 0, v[20:21]
	s_or_b64 s[0:1], vcc, s[0:1]
                                        ; implicit-def: $vgpr18_vgpr19
	s_and_saveexec_b64 s[12:13], s[0:1]
	s_xor_b64 s[0:1], exec, s[12:13]
; %bb.376:
	v_min_i32_e32 v1, 15, v1
	v_lshl_or_b32 v1, v1, 3, v2
	v_and_or_b32 v18, v20, 7, v1
                                        ; implicit-def: $vgpr2
; %bb.377:
	s_andn2_saveexec_b64 s[0:1], s[0:1]
; %bb.378:
	v_pk_mov_b32 v[18:19], v[2:3], v[2:3] op_sel:[0,1]
; %bb.379:
	s_or_b64 exec, exec, s[0:1]
.LBB3_380:
	s_or_b64 exec, exec, s[8:9]
.LBB3_381:
	s_andn2_saveexec_b64 s[0:1], s[6:7]
	s_or_b64 exec, exec, s[0:1]
                                        ; implicit-def: $vgpr1
                                        ; implicit-def: $vgpr20_vgpr21
.LBB3_382:
	s_andn2_saveexec_b64 s[0:1], s[4:5]
; %bb.383:
	s_movk_i32 s4, 0x7f
	v_or_b32_sdwa v1, v1, s4 dst_sel:DWORD dst_unused:UNUSED_PAD src0_sel:BYTE_3 src1_sel:DWORD
	v_cmp_eq_u64_e32 vcc, 0, v[20:21]
	v_cndmask_b32_e32 v18, v1, v18, vcc
; %bb.384:
	s_or_b64 exec, exec, s[0:1]
	v_lshrrev_b32_e32 v1, 16, v3
	;;#ASMSTART
	v_cvt_f32_f16 v1, v1;
	;;#ASMEND
	v_mul_f32_e32 v1, v22, v1
	v_min_f32_e32 v1, 0x43e00000, v1
	v_max_f32_e32 v1, 0xc3e00000, v1
	v_mov_b32_e32 v23, 0
	s_movk_i32 s0, 0x80
	v_and_b32_sdwa v2, v1, s0 dst_sel:DWORD dst_unused:UNUSED_PAD src0_sel:BYTE_3 src1_sel:DWORD
	v_and_b32_e32 v28, 0x7f800000, v1
	v_mov_b32_e32 v29, v23
	s_mov_b64 s[0:1], 0x7f800000
	v_and_b32_e32 v22, 0x7fffff, v1
	v_or_b32_e32 v20, 0x7e, v2
	v_cmp_ne_u64_e32 vcc, s[0:1], v[28:29]
	s_and_saveexec_b64 s[0:1], vcc
	s_xor_b64 s[4:5], exec, s[0:1]
	s_cbranch_execz .LBB3_398
; %bb.385:
	v_and_b32_e32 v28, 0x7fffffff, v1
	v_mov_b32_e32 v29, v23
	s_mov_b64 s[0:1], 0x43e00001
	v_cmp_gt_u64_e32 vcc, s[0:1], v[28:29]
	s_and_saveexec_b64 s[0:1], vcc
	s_xor_b64 s[6:7], exec, s[0:1]
	s_cbranch_execz .LBB3_397
; %bb.386:
	v_cmp_ne_u32_e32 vcc, 0, v1
	v_pk_mov_b32 v[20:21], 0, 0
	s_and_saveexec_b64 s[8:9], vcc
	s_cbranch_execz .LBB3_396
; %bb.387:
	v_bfe_u32 v1, v1, 23, 8
	s_movk_i32 s0, 0x79
	v_sub_u32_e64 v3, s0, v1 clamp
	v_mov_b32_e32 v13, 0x78
	v_cmp_eq_u32_e32 vcc, 0, v1
	v_add_u32_e32 v11, 0xffffff88, v1
	v_cndmask_b32_e32 v1, v3, v13, vcc
	v_add_u32_e32 v3, 20, v1
	v_lshlrev_b64 v[20:21], v3, -1
	v_or_b32_e32 v9, 0x800000, v22
	v_not_b32_e32 v3, v21
	v_cndmask_b32_e32 v22, v9, v22, vcc
	v_not_b32_e32 v9, v20
	v_and_b32_e32 v21, 0, v3
	v_add_u32_e32 v3, 19, v1
	v_and_b32_e32 v20, v22, v9
	v_lshlrev_b64 v[28:29], v3, 1
	v_cmp_eq_u64_e64 s[0:1], v[20:21], v[28:29]
	v_lshrrev_b64 v[20:21], v1, v[22:23]
	v_mov_b32_e32 v3, 0xffffff89
	v_and_b32_e32 v22, 0x100000, v20
	v_mov_b32_e32 v23, 0
	v_cndmask_b32_e32 v3, v11, v3, vcc
	v_cmp_eq_u64_e32 vcc, 0, v[22:23]
	v_lshrrev_b32_e32 v9, 23, v20
	s_and_b64 vcc, vcc, s[0:1]
	v_add3_u32 v3, v3, v1, v9
	v_subbrev_co_u32_e32 v1, vcc, 0, v20, vcc
	v_and_b32_e32 v1, 0xfffff, v1
	v_add_co_u32_e32 v20, vcc, v1, v20
	v_add_u32_e32 v9, -1, v3
	v_addc_co_u32_e32 v21, vcc, 0, v21, vcc
	v_cmp_ne_u32_e32 vcc, 0, v9
                                        ; implicit-def: $vgpr1
	s_and_saveexec_b64 s[0:1], vcc
	s_xor_b64 s[0:1], exec, s[0:1]
; %bb.388:
	v_and_b32_e32 v22, 0x1000000, v20
	v_cmp_eq_u64_e32 vcc, 0, v[22:23]
	v_cndmask_b32_e32 v1, v3, v9, vcc
	v_bfe_u32 v3, v20, 24, 1
	v_lshrrev_b64 v[20:21], v3, v[20:21]
; %bb.389:
	s_andn2_saveexec_b64 s[0:1], s[0:1]
; %bb.390:
	v_bfe_u32 v1, v20, 23, 1
; %bb.391:
	s_or_b64 exec, exec, s[0:1]
	v_lshrrev_b64 v[20:21], 20, v[20:21]
	v_cmp_gt_i32_e32 vcc, 16, v1
	v_cndmask_b32_e32 v23, 0, v21, vcc
	v_cndmask_b32_e32 v22, 7, v20, vcc
	v_cmp_ne_u32_e32 vcc, 0, v1
	v_cmp_ne_u64_e64 s[0:1], 0, v[22:23]
	s_or_b64 s[0:1], vcc, s[0:1]
                                        ; implicit-def: $vgpr20_vgpr21
	s_and_saveexec_b64 s[12:13], s[0:1]
	s_xor_b64 s[0:1], exec, s[12:13]
; %bb.392:
	v_min_i32_e32 v1, 15, v1
	v_lshl_or_b32 v1, v1, 3, v2
	v_and_or_b32 v20, v22, 7, v1
                                        ; implicit-def: $vgpr2
; %bb.393:
	s_andn2_saveexec_b64 s[0:1], s[0:1]
; %bb.394:
	v_pk_mov_b32 v[20:21], v[2:3], v[2:3] op_sel:[0,1]
; %bb.395:
	s_or_b64 exec, exec, s[0:1]
.LBB3_396:
	s_or_b64 exec, exec, s[8:9]
.LBB3_397:
	s_andn2_saveexec_b64 s[0:1], s[6:7]
	s_or_b64 exec, exec, s[0:1]
                                        ; implicit-def: $vgpr1
                                        ; implicit-def: $vgpr22_vgpr23
.LBB3_398:
	s_andn2_saveexec_b64 s[0:1], s[4:5]
; %bb.399:
	s_movk_i32 s4, 0x7f
	v_or_b32_sdwa v1, v1, s4 dst_sel:DWORD dst_unused:UNUSED_PAD src0_sel:BYTE_3 src1_sel:DWORD
	v_cmp_eq_u64_e32 vcc, 0, v[22:23]
	v_cndmask_b32_e32 v20, v1, v20, vcc
; %bb.400:
	s_or_b64 exec, exec, s[0:1]
	v_lshlrev_b64 v[2:3], 3, v[4:5]
	v_lshlrev_b32_e32 v5, 16, v18
	v_lshlrev_b32_e32 v1, 24, v20
	v_and_b32_e32 v5, 0xff0000, v5
	v_or_b32_e32 v1, v1, v5
	v_lshlrev_b32_e32 v5, 8, v16
	v_and_b32_e32 v5, 0xff00, v5
	v_and_b32_e32 v9, 0xff, v14
	v_or3_b32 v1, v1, v5, v9
	v_lshlrev_b32_e32 v5, 16, v12
	s_mov_b32 s1, 0x4020c0c
	s_mov_b32 s0, 0xff00
	v_lshlrev_b32_e32 v9, 8, v10
	v_perm_b32 v0, v0, v5, s1
	v_add_co_u32_e32 v2, vcc, v24, v2
	v_and_or_b32 v0, v9, s0, v0
	v_addc_co_u32_e32 v3, vcc, v25, v3, vcc
	v_or_b32_sdwa v0, v0, v8 dst_sel:DWORD dst_unused:UNUSED_PAD src0_sel:DWORD src1_sel:BYTE_0
	global_store_dwordx2 v[2:3], v[0:1], off
.LBB3_401:
	s_or_b64 exec, exec, s[2:3]
	s_cmp_lg_u64 s[10:11], 0
	s_cselect_b64 s[0:1], -1, 0
	v_cmp_eq_u32_e32 vcc, 0, v4
	s_and_b64 s[0:1], s[0:1], vcc
	s_and_saveexec_b64 s[2:3], s[0:1]
	s_cbranch_execz .LBB3_403
; %bb.402:
	v_mov_b32_e32 v1, s11
	v_add_co_u32_e32 v0, vcc, s10, v6
	v_addc_co_u32_e32 v1, vcc, v1, v7, vcc
	global_store_dword v[0:1], v26, off
.LBB3_403:
	s_endpgm
	.section	.rodata,"a",@progbits
	.p2align	6, 0x0
	.amdhsa_kernel _ZN4vllm24merge_attn_states_kernelItN3c1013Float8_e4m3fnELj128ELb1EEEvPT0_PfPKT_PKfS8_SA_jjjjjjSA_
		.amdhsa_group_segment_fixed_size 0
		.amdhsa_private_segment_fixed_size 0
		.amdhsa_kernarg_size 80
		.amdhsa_user_sgpr_count 6
		.amdhsa_user_sgpr_private_segment_buffer 1
		.amdhsa_user_sgpr_dispatch_ptr 0
		.amdhsa_user_sgpr_queue_ptr 0
		.amdhsa_user_sgpr_kernarg_segment_ptr 1
		.amdhsa_user_sgpr_dispatch_id 0
		.amdhsa_user_sgpr_flat_scratch_init 0
		.amdhsa_user_sgpr_kernarg_preload_length 0
		.amdhsa_user_sgpr_kernarg_preload_offset 0
		.amdhsa_user_sgpr_private_segment_size 0
		.amdhsa_uses_dynamic_stack 0
		.amdhsa_system_sgpr_private_segment_wavefront_offset 0
		.amdhsa_system_sgpr_workgroup_id_x 1
		.amdhsa_system_sgpr_workgroup_id_y 0
		.amdhsa_system_sgpr_workgroup_id_z 0
		.amdhsa_system_sgpr_workgroup_info 0
		.amdhsa_system_vgpr_workitem_id 0
		.amdhsa_next_free_vgpr 35
		.amdhsa_next_free_sgpr 26
		.amdhsa_accum_offset 36
		.amdhsa_reserve_vcc 1
		.amdhsa_reserve_flat_scratch 0
		.amdhsa_float_round_mode_32 0
		.amdhsa_float_round_mode_16_64 0
		.amdhsa_float_denorm_mode_32 3
		.amdhsa_float_denorm_mode_16_64 3
		.amdhsa_dx10_clamp 1
		.amdhsa_ieee_mode 1
		.amdhsa_fp16_overflow 0
		.amdhsa_tg_split 0
		.amdhsa_exception_fp_ieee_invalid_op 0
		.amdhsa_exception_fp_denorm_src 0
		.amdhsa_exception_fp_ieee_div_zero 0
		.amdhsa_exception_fp_ieee_overflow 0
		.amdhsa_exception_fp_ieee_underflow 0
		.amdhsa_exception_fp_ieee_inexact 0
		.amdhsa_exception_int_div_zero 0
	.end_amdhsa_kernel
	.section	.text._ZN4vllm24merge_attn_states_kernelItN3c1013Float8_e4m3fnELj128ELb1EEEvPT0_PfPKT_PKfS8_SA_jjjjjjSA_,"axG",@progbits,_ZN4vllm24merge_attn_states_kernelItN3c1013Float8_e4m3fnELj128ELb1EEEvPT0_PfPKT_PKfS8_SA_jjjjjjSA_,comdat
.Lfunc_end3:
	.size	_ZN4vllm24merge_attn_states_kernelItN3c1013Float8_e4m3fnELj128ELb1EEEvPT0_PfPKT_PKfS8_SA_jjjjjjSA_, .Lfunc_end3-_ZN4vllm24merge_attn_states_kernelItN3c1013Float8_e4m3fnELj128ELb1EEEvPT0_PfPKT_PKfS8_SA_jjjjjjSA_
                                        ; -- End function
	.section	.AMDGPU.csdata,"",@progbits
; Kernel info:
; codeLenInByte = 14380
; NumSgprs: 30
; NumVgprs: 35
; NumAgprs: 0
; TotalNumVgprs: 35
; ScratchSize: 0
; MemoryBound: 0
; FloatMode: 240
; IeeeMode: 1
; LDSByteSize: 0 bytes/workgroup (compile time only)
; SGPRBlocks: 3
; VGPRBlocks: 4
; NumSGPRsForWavesPerEU: 30
; NumVGPRsForWavesPerEU: 35
; AccumOffset: 36
; Occupancy: 8
; WaveLimiterHint : 0
; COMPUTE_PGM_RSRC2:SCRATCH_EN: 0
; COMPUTE_PGM_RSRC2:USER_SGPR: 6
; COMPUTE_PGM_RSRC2:TRAP_HANDLER: 0
; COMPUTE_PGM_RSRC2:TGID_X_EN: 1
; COMPUTE_PGM_RSRC2:TGID_Y_EN: 0
; COMPUTE_PGM_RSRC2:TGID_Z_EN: 0
; COMPUTE_PGM_RSRC2:TIDIG_COMP_CNT: 0
; COMPUTE_PGM_RSRC3_GFX90A:ACCUM_OFFSET: 8
; COMPUTE_PGM_RSRC3_GFX90A:TG_SPLIT: 0
	.section	.text._ZN4vllm24merge_attn_states_kernelItN3c1015Float8_e4m3fnuzELj128ELb1EEEvPT0_PfPKT_PKfS8_SA_jjjjjjSA_,"axG",@progbits,_ZN4vllm24merge_attn_states_kernelItN3c1015Float8_e4m3fnuzELj128ELb1EEEvPT0_PfPKT_PKfS8_SA_jjjjjjSA_,comdat
	.protected	_ZN4vllm24merge_attn_states_kernelItN3c1015Float8_e4m3fnuzELj128ELb1EEEvPT0_PfPKT_PKfS8_SA_jjjjjjSA_ ; -- Begin function _ZN4vllm24merge_attn_states_kernelItN3c1015Float8_e4m3fnuzELj128ELb1EEEvPT0_PfPKT_PKfS8_SA_jjjjjjSA_
	.globl	_ZN4vllm24merge_attn_states_kernelItN3c1015Float8_e4m3fnuzELj128ELb1EEEvPT0_PfPKT_PKfS8_SA_jjjjjjSA_
	.p2align	8
	.type	_ZN4vllm24merge_attn_states_kernelItN3c1015Float8_e4m3fnuzELj128ELb1EEEvPT0_PfPKT_PKfS8_SA_jjjjjjSA_,@function
_ZN4vllm24merge_attn_states_kernelItN3c1015Float8_e4m3fnuzELj128ELb1EEEvPT0_PfPKT_PKfS8_SA_jjjjjjSA_: ; @_ZN4vllm24merge_attn_states_kernelItN3c1015Float8_e4m3fnuzELj128ELb1EEEvPT0_PfPKT_PKfS8_SA_jjjjjjSA_
; %bb.0:
	s_load_dwordx4 s[16:19], s[4:5], 0x30
	v_lshl_add_u32 v0, s6, 7, v0
	s_waitcnt lgkmcnt(0)
	s_lshr_b32 s6, s18, 3
	s_mul_i32 s0, s17, s16
	s_mul_i32 s0, s0, s6
	v_cmp_gt_u32_e32 vcc, s0, v0
	s_and_saveexec_b64 s[0:1], vcc
	s_cbranch_execz .LBB4_259
; %bb.1:
	v_cvt_f32_u32_e32 v1, s6
	s_load_dwordx8 s[8:15], s[4:5], 0x0
	v_cvt_f32_u32_e32 v2, s17
	s_load_dwordx4 s[20:23], s[4:5], 0x40
	s_load_dwordx4 s[0:3], s[4:5], 0x20
	v_rcp_iflag_f32_e32 v1, v1
	s_sub_i32 s4, 0, s6
	v_rcp_iflag_f32_e32 v2, v2
	s_waitcnt lgkmcnt(0)
	v_mov_b32_e32 v9, s9
	v_mul_f32_e32 v1, 0x4f7ffffe, v1
	v_cvt_u32_f32_e32 v1, v1
	v_mul_f32_e32 v2, 0x4f7ffffe, v2
	v_cvt_u32_f32_e32 v2, v2
	v_mul_lo_u32 v3, s4, v1
	v_mul_hi_u32 v3, v1, v3
	v_add_u32_e32 v1, v1, v3
	v_mul_hi_u32 v1, v0, v1
	v_mul_lo_u32 v3, v1, s6
	v_sub_u32_e32 v3, v0, v3
	v_add_u32_e32 v4, 1, v1
	v_cmp_le_u32_e32 vcc, s6, v3
	v_cndmask_b32_e32 v1, v1, v4, vcc
	v_subrev_u32_e32 v4, s6, v3
	v_cndmask_b32_e32 v3, v3, v4, vcc
	v_add_u32_e32 v4, 1, v1
	v_cmp_le_u32_e32 vcc, s6, v3
	v_cndmask_b32_e32 v1, v1, v4, vcc
	v_mul_lo_u32 v3, v1, s6
	s_sub_i32 s4, 0, s17
	v_sub_u32_e32 v4, v0, v3
	v_mul_lo_u32 v0, s4, v2
	v_mul_hi_u32 v0, v2, v0
	v_add_u32_e32 v0, v2, v0
	v_mul_hi_u32 v0, v1, v0
	v_mul_lo_u32 v2, v0, s17
	v_sub_u32_e32 v2, v1, v2
	v_add_u32_e32 v3, 1, v0
	v_cmp_le_u32_e32 vcc, s17, v2
	v_cndmask_b32_e32 v0, v0, v3, vcc
	v_subrev_u32_e32 v3, s17, v2
	v_cndmask_b32_e32 v2, v2, v3, vcc
	v_add_u32_e32 v3, 1, v0
	v_cmp_le_u32_e32 vcc, s17, v2
	s_load_dword s4, s[22:23], 0x0
	v_cndmask_b32_e32 v6, v0, v3, vcc
	v_mul_lo_u32 v0, v6, s17
	v_sub_u32_e32 v7, v1, v0
	v_mul_lo_u32 v0, v1, s19
	v_mul_lo_u32 v8, v1, s20
	v_mov_b32_e32 v1, 0
	v_lshlrev_b64 v[0:1], 1, v[0:1]
	v_mov_b32_e32 v3, s1
	v_add_co_u32_e32 v2, vcc, s0, v0
	s_waitcnt lgkmcnt(0)
	v_div_scale_f32 v10, s[0:1], s4, s4, 1.0
	v_rcp_f32_e32 v11, v10
	v_addc_co_u32_e32 v3, vcc, v3, v1, vcc
	v_add_co_u32_e32 v22, vcc, s8, v8
	v_addc_co_u32_e32 v23, vcc, 0, v9, vcc
	v_fma_f32 v8, -v10, v11, 1.0
	v_fmac_f32_e32 v11, v8, v11
	v_div_scale_f32 v8, vcc, 1.0, s4, 1.0
	v_mul_f32_e32 v9, v8, v11
	v_fma_f32 v12, -v10, v9, v8
	v_fmac_f32_e32 v9, v12, v11
	v_fma_f32 v8, -v10, v9, v8
	v_div_fmas_f32 v8, v8, v11, v9
	v_lshlrev_b32_e32 v5, 3, v4
	v_div_fixup_f32 v24, v8, s4, 1.0
	v_cmp_le_u32_e32 vcc, s21, v6
	s_and_saveexec_b64 s[0:1], vcc
	s_xor_b64 s[4:5], exec, s[0:1]
	s_cbranch_execz .LBB4_87
; %bb.2:
	v_cmp_gt_u32_e32 vcc, s18, v5
	s_and_saveexec_b64 s[6:7], vcc
	s_cbranch_execz .LBB4_84
; %bb.3:
	v_mov_b32_e32 v5, 0
	v_lshlrev_b64 v[0:1], 4, v[4:5]
	v_add_co_u32_e32 v0, vcc, v2, v0
	v_addc_co_u32_e32 v1, vcc, v3, v1, vcc
	global_load_dwordx4 v[0:3], v[0:1], off
	s_movk_i32 s0, 0x7f
	v_mov_b32_e32 v11, v5
	s_waitcnt vmcnt(0)
	v_and_b32_e32 v8, 0xffff, v0
	;;#ASMSTART
	v_cvt_f32_f16 v8, v8;
	;;#ASMEND
	v_mul_f32_e32 v8, v24, v8
	v_min_f32_e32 v8, 0x43600000, v8
	v_max_f32_e32 v12, 0xc3600000, v8
	v_or_b32_sdwa v8, v12, s0 dst_sel:DWORD dst_unused:UNUSED_PAD src0_sel:BYTE_3 src1_sel:DWORD
	v_and_b32_e32 v10, 0x7f800000, v12
	s_mov_b64 s[0:1], 0x7f800000
	v_cmp_ne_u64_e32 vcc, s[0:1], v[10:11]
	s_and_saveexec_b64 s[0:1], vcc
	s_xor_b64 s[8:9], exec, s[0:1]
	s_cbranch_execz .LBB4_13
; %bb.4:
	v_and_b32_e32 v10, 0x7fffffff, v12
	v_mov_b32_e32 v11, v5
	s_mov_b64 s[0:1], 0x43700001
	v_cmp_gt_u64_e32 vcc, s[0:1], v[10:11]
	s_and_saveexec_b64 s[0:1], vcc
	s_xor_b64 s[20:21], exec, s[0:1]
	s_cbranch_execz .LBB4_12
; %bb.5:
	v_cmp_ne_u32_e32 vcc, 0, v12
	v_pk_mov_b32 v[8:9], 0, 0
	s_and_saveexec_b64 s[22:23], vcc
	s_cbranch_execz .LBB4_11
; %bb.6:
	v_bfe_u32 v9, v12, 23, 8
	s_movk_i32 s0, 0x78
	v_and_b32_e32 v8, 0x7fffff, v12
	v_sub_u32_e64 v10, s0, v9 clamp
	v_mov_b32_e32 v14, 0x77
	v_cmp_eq_u32_e32 vcc, 0, v9
	v_or_b32_e32 v11, 0x800000, v8
	v_cndmask_b32_e32 v16, v10, v14, vcc
	v_cndmask_b32_e32 v10, v11, v8, vcc
	v_add_u32_e32 v8, 20, v16
	v_add_u32_e32 v13, 0xffffff89, v9
	v_lshlrev_b64 v[8:9], v8, -1
	v_mov_b32_e32 v11, 0
	v_not_b32_e32 v8, v8
	v_add_u32_e32 v14, 19, v16
	v_and_b32_e32 v8, v10, v8
	v_mov_b32_e32 v9, v11
	v_lshlrev_b64 v[14:15], v14, 1
	v_cmp_eq_u64_e64 s[0:1], v[8:9], v[14:15]
	v_lshrrev_b64 v[8:9], v16, v[10:11]
	v_mov_b32_e32 v10, 0xffffff8a
	v_cndmask_b32_e32 v10, v13, v10, vcc
	v_lshrrev_b32_e32 v13, 23, v8
	v_add3_u32 v13, v10, v16, v13
	v_and_b32_e32 v10, 0x100000, v8
	v_cmp_eq_u64_e32 vcc, 0, v[10:11]
	s_and_b64 vcc, vcc, s[0:1]
	v_subbrev_co_u32_e32 v10, vcc, 0, v8, vcc
	v_and_b32_e32 v10, 0xfffff, v10
	v_add_co_u32_e32 v8, vcc, v10, v8
	v_add_u32_e32 v14, -1, v13
	v_addc_co_u32_e32 v9, vcc, 0, v9, vcc
	v_cmp_ne_u32_e32 vcc, 0, v14
                                        ; implicit-def: $vgpr10
	s_and_saveexec_b64 s[0:1], vcc
	s_xor_b64 s[0:1], exec, s[0:1]
; %bb.7:
	v_and_b32_e32 v10, 0x1000000, v8
	v_cmp_eq_u64_e32 vcc, 0, v[10:11]
	v_bfe_u32 v11, v8, 24, 1
	v_cndmask_b32_e32 v10, v13, v14, vcc
	v_lshrrev_b64 v[8:9], v11, v[8:9]
; %bb.8:
	s_andn2_saveexec_b64 s[0:1], s[0:1]
; %bb.9:
	v_bfe_u32 v10, v8, 23, 1
; %bb.10:
	s_or_b64 exec, exec, s[0:1]
	s_movk_i32 s0, 0x80
	v_lshrrev_b64 v[8:9], 20, v[8:9]
	v_cmp_gt_i32_e32 vcc, 16, v10
	v_and_b32_sdwa v11, v12, s0 dst_sel:DWORD dst_unused:UNUSED_PAD src0_sel:BYTE_3 src1_sel:DWORD
	v_min_i32_e32 v12, 15, v10
	v_cndmask_b32_e32 v9, 0, v9, vcc
	v_cndmask_b32_e32 v8, 7, v8, vcc
	v_cmp_eq_u32_e32 vcc, 0, v10
	v_cmp_eq_u64_e64 s[0:1], 0, v[8:9]
	v_lshl_or_b32 v9, v12, 3, v11
	v_and_or_b32 v8, v8, 7, v9
	s_and_b64 s[0:1], vcc, s[0:1]
	v_cndmask_b32_e64 v8, v8, 0, s[0:1]
.LBB4_11:
	s_or_b64 exec, exec, s[22:23]
.LBB4_12:
	s_andn2_saveexec_b64 s[0:1], s[20:21]
	s_or_b64 exec, exec, s[0:1]
.LBB4_13:
	s_andn2_saveexec_b64 s[0:1], s[8:9]
	s_or_b64 exec, exec, s[0:1]
	v_lshrrev_b32_e32 v0, 16, v0
	;;#ASMSTART
	v_cvt_f32_f16 v0, v0;
	;;#ASMEND
	v_mul_f32_e32 v0, v24, v0
	v_min_f32_e32 v0, 0x43600000, v0
	v_max_f32_e32 v0, 0xc3600000, v0
	s_movk_i32 s0, 0x7f
	v_mov_b32_e32 v13, 0
	v_or_b32_sdwa v10, v0, s0 dst_sel:DWORD dst_unused:UNUSED_PAD src0_sel:BYTE_3 src1_sel:DWORD
	v_and_b32_e32 v12, 0x7f800000, v0
	s_mov_b64 s[0:1], 0x7f800000
	v_cmp_ne_u64_e32 vcc, s[0:1], v[12:13]
	s_and_saveexec_b64 s[0:1], vcc
	s_xor_b64 s[8:9], exec, s[0:1]
	s_cbranch_execz .LBB4_23
; %bb.14:
	v_and_b32_e32 v12, 0x7fffffff, v0
	s_mov_b64 s[0:1], 0x43700001
	v_cmp_gt_u64_e32 vcc, s[0:1], v[12:13]
	s_and_saveexec_b64 s[0:1], vcc
	s_xor_b64 s[20:21], exec, s[0:1]
	s_cbranch_execz .LBB4_22
; %bb.15:
	v_cmp_ne_u32_e32 vcc, 0, v0
	v_pk_mov_b32 v[10:11], 0, 0
	s_and_saveexec_b64 s[22:23], vcc
	s_cbranch_execz .LBB4_21
; %bb.16:
	v_bfe_u32 v10, v0, 23, 8
	s_movk_i32 s0, 0x78
	v_and_b32_e32 v9, 0x7fffff, v0
	v_sub_u32_e64 v11, s0, v10 clamp
	v_mov_b32_e32 v13, 0x77
	v_cmp_eq_u32_e32 vcc, 0, v10
	v_or_b32_e32 v12, 0x800000, v9
	v_cndmask_b32_e32 v17, v11, v13, vcc
	v_cndmask_b32_e32 v12, v12, v9, vcc
	v_add_u32_e32 v9, 20, v17
	v_add_u32_e32 v16, 0xffffff89, v10
	v_lshlrev_b64 v[10:11], v9, -1
	v_not_b32_e32 v9, v10
	v_mov_b32_e32 v13, 0
	v_and_b32_e32 v10, v12, v9
	v_add_u32_e32 v9, 19, v17
	v_mov_b32_e32 v11, v13
	v_lshlrev_b64 v[14:15], v9, 1
	v_cmp_eq_u64_e64 s[0:1], v[10:11], v[14:15]
	v_lshrrev_b64 v[10:11], v17, v[12:13]
	v_mov_b32_e32 v9, 0xffffff8a
	v_cndmask_b32_e32 v9, v16, v9, vcc
	v_lshrrev_b32_e32 v12, 23, v10
	v_add3_u32 v14, v9, v17, v12
	v_and_b32_e32 v12, 0x100000, v10
	v_cmp_eq_u64_e32 vcc, 0, v[12:13]
	s_and_b64 vcc, vcc, s[0:1]
	v_subbrev_co_u32_e32 v9, vcc, 0, v10, vcc
	v_and_b32_e32 v9, 0xfffff, v9
	v_add_co_u32_e32 v10, vcc, v9, v10
	v_add_u32_e32 v15, -1, v14
	v_addc_co_u32_e32 v11, vcc, 0, v11, vcc
	v_cmp_ne_u32_e32 vcc, 0, v15
                                        ; implicit-def: $vgpr9
	s_and_saveexec_b64 s[0:1], vcc
	s_xor_b64 s[0:1], exec, s[0:1]
; %bb.17:
	v_and_b32_e32 v12, 0x1000000, v10
	v_cmp_eq_u64_e32 vcc, 0, v[12:13]
	v_bfe_u32 v12, v10, 24, 1
	v_cndmask_b32_e32 v9, v14, v15, vcc
	v_lshrrev_b64 v[10:11], v12, v[10:11]
; %bb.18:
	s_andn2_saveexec_b64 s[0:1], s[0:1]
; %bb.19:
	v_bfe_u32 v9, v10, 23, 1
; %bb.20:
	s_or_b64 exec, exec, s[0:1]
	s_movk_i32 s0, 0x80
	v_lshrrev_b64 v[10:11], 20, v[10:11]
	v_cmp_gt_i32_e32 vcc, 16, v9
	v_and_b32_sdwa v0, v0, s0 dst_sel:DWORD dst_unused:UNUSED_PAD src0_sel:BYTE_3 src1_sel:DWORD
	v_min_i32_e32 v12, 15, v9
	v_cndmask_b32_e32 v11, 0, v11, vcc
	v_cndmask_b32_e32 v10, 7, v10, vcc
	v_cmp_eq_u32_e32 vcc, 0, v9
	v_cmp_eq_u64_e64 s[0:1], 0, v[10:11]
	v_lshl_or_b32 v0, v12, 3, v0
	v_and_or_b32 v0, v10, 7, v0
	s_and_b64 s[0:1], vcc, s[0:1]
	v_cndmask_b32_e64 v10, v0, 0, s[0:1]
.LBB4_21:
	s_or_b64 exec, exec, s[22:23]
.LBB4_22:
	s_andn2_saveexec_b64 s[0:1], s[20:21]
	s_or_b64 exec, exec, s[0:1]
.LBB4_23:
	s_andn2_saveexec_b64 s[0:1], s[8:9]
	s_or_b64 exec, exec, s[0:1]
	v_and_b32_e32 v0, 0xffff, v1
	;;#ASMSTART
	v_cvt_f32_f16 v0, v0;
	;;#ASMEND
	v_mul_f32_e32 v0, v24, v0
	v_min_f32_e32 v0, 0x43600000, v0
	v_max_f32_e32 v0, 0xc3600000, v0
	s_movk_i32 s0, 0x7f
	v_mov_b32_e32 v15, 0
	v_or_b32_sdwa v12, v0, s0 dst_sel:DWORD dst_unused:UNUSED_PAD src0_sel:BYTE_3 src1_sel:DWORD
	v_and_b32_e32 v14, 0x7f800000, v0
	s_mov_b64 s[0:1], 0x7f800000
	v_cmp_ne_u64_e32 vcc, s[0:1], v[14:15]
	s_and_saveexec_b64 s[0:1], vcc
	s_xor_b64 s[8:9], exec, s[0:1]
	s_cbranch_execz .LBB4_33
; %bb.24:
	v_and_b32_e32 v14, 0x7fffffff, v0
	s_mov_b64 s[0:1], 0x43700001
	v_cmp_gt_u64_e32 vcc, s[0:1], v[14:15]
	s_and_saveexec_b64 s[0:1], vcc
	s_xor_b64 s[20:21], exec, s[0:1]
	s_cbranch_execz .LBB4_32
; %bb.25:
	v_cmp_ne_u32_e32 vcc, 0, v0
	v_pk_mov_b32 v[12:13], 0, 0
	s_and_saveexec_b64 s[22:23], vcc
	s_cbranch_execz .LBB4_31
; %bb.26:
	v_bfe_u32 v11, v0, 23, 8
	s_movk_i32 s0, 0x78
	v_and_b32_e32 v9, 0x7fffff, v0
	v_sub_u32_e64 v12, s0, v11 clamp
	v_mov_b32_e32 v14, 0x77
	v_cmp_eq_u32_e32 vcc, 0, v11
	v_or_b32_e32 v13, 0x800000, v9
	v_add_u32_e32 v18, 0xffffff89, v11
	v_cndmask_b32_e32 v11, v12, v14, vcc
	v_cndmask_b32_e32 v14, v13, v9, vcc
	v_add_u32_e32 v9, 20, v11
	v_lshlrev_b64 v[12:13], v9, -1
	v_not_b32_e32 v9, v12
	v_mov_b32_e32 v15, 0
	v_and_b32_e32 v12, v14, v9
	v_add_u32_e32 v9, 19, v11
	v_mov_b32_e32 v13, v15
	v_lshlrev_b64 v[16:17], v9, 1
	v_cmp_eq_u64_e64 s[0:1], v[12:13], v[16:17]
	v_lshrrev_b64 v[12:13], v11, v[14:15]
	v_mov_b32_e32 v9, 0xffffff8a
	v_cndmask_b32_e32 v9, v18, v9, vcc
	v_lshrrev_b32_e32 v14, 23, v12
	v_add3_u32 v11, v9, v11, v14
	v_and_b32_e32 v14, 0x100000, v12
	v_cmp_eq_u64_e32 vcc, 0, v[14:15]
	s_and_b64 vcc, vcc, s[0:1]
	v_subbrev_co_u32_e32 v9, vcc, 0, v12, vcc
	v_and_b32_e32 v9, 0xfffff, v9
	v_add_co_u32_e32 v12, vcc, v9, v12
	v_add_u32_e32 v16, -1, v11
	v_addc_co_u32_e32 v13, vcc, 0, v13, vcc
	v_cmp_ne_u32_e32 vcc, 0, v16
                                        ; implicit-def: $vgpr9
	s_and_saveexec_b64 s[0:1], vcc
	s_xor_b64 s[0:1], exec, s[0:1]
; %bb.27:
	v_and_b32_e32 v14, 0x1000000, v12
	v_cmp_eq_u64_e32 vcc, 0, v[14:15]
	v_cndmask_b32_e32 v9, v11, v16, vcc
	v_bfe_u32 v11, v12, 24, 1
	v_lshrrev_b64 v[12:13], v11, v[12:13]
; %bb.28:
	s_andn2_saveexec_b64 s[0:1], s[0:1]
; %bb.29:
	v_bfe_u32 v9, v12, 23, 1
; %bb.30:
	s_or_b64 exec, exec, s[0:1]
	s_movk_i32 s0, 0x80
	v_lshrrev_b64 v[12:13], 20, v[12:13]
	v_cmp_gt_i32_e32 vcc, 16, v9
	v_and_b32_sdwa v0, v0, s0 dst_sel:DWORD dst_unused:UNUSED_PAD src0_sel:BYTE_3 src1_sel:DWORD
	v_min_i32_e32 v11, 15, v9
	v_cndmask_b32_e32 v13, 0, v13, vcc
	v_cndmask_b32_e32 v12, 7, v12, vcc
	v_cmp_eq_u32_e32 vcc, 0, v9
	v_cmp_eq_u64_e64 s[0:1], 0, v[12:13]
	v_lshl_or_b32 v0, v11, 3, v0
	v_and_or_b32 v0, v12, 7, v0
	s_and_b64 s[0:1], vcc, s[0:1]
	v_cndmask_b32_e64 v12, v0, 0, s[0:1]
.LBB4_31:
	s_or_b64 exec, exec, s[22:23]
.LBB4_32:
	s_andn2_saveexec_b64 s[0:1], s[20:21]
	s_or_b64 exec, exec, s[0:1]
.LBB4_33:
	s_andn2_saveexec_b64 s[0:1], s[8:9]
	s_or_b64 exec, exec, s[0:1]
	v_lshrrev_b32_e32 v0, 16, v1
	;;#ASMSTART
	v_cvt_f32_f16 v0, v0;
	;;#ASMEND
	v_mul_f32_e32 v0, v24, v0
	v_min_f32_e32 v0, 0x43600000, v0
	v_max_f32_e32 v9, 0xc3600000, v0
	s_movk_i32 s0, 0x7f
	v_mov_b32_e32 v15, 0
	v_or_b32_sdwa v0, v9, s0 dst_sel:DWORD dst_unused:UNUSED_PAD src0_sel:BYTE_3 src1_sel:DWORD
	v_and_b32_e32 v14, 0x7f800000, v9
	s_mov_b64 s[0:1], 0x7f800000
	v_cmp_ne_u64_e32 vcc, s[0:1], v[14:15]
	s_and_saveexec_b64 s[0:1], vcc
	s_xor_b64 s[8:9], exec, s[0:1]
	s_cbranch_execz .LBB4_43
; %bb.34:
	v_and_b32_e32 v14, 0x7fffffff, v9
	s_mov_b64 s[0:1], 0x43700001
	v_cmp_gt_u64_e32 vcc, s[0:1], v[14:15]
	s_and_saveexec_b64 s[0:1], vcc
	s_xor_b64 s[20:21], exec, s[0:1]
	s_cbranch_execz .LBB4_42
; %bb.35:
	v_cmp_ne_u32_e32 vcc, 0, v9
	v_pk_mov_b32 v[0:1], 0, 0
	s_and_saveexec_b64 s[22:23], vcc
	s_cbranch_execz .LBB4_41
; %bb.36:
	v_bfe_u32 v1, v9, 23, 8
	s_movk_i32 s0, 0x78
	v_and_b32_e32 v0, 0x7fffff, v9
	v_sub_u32_e64 v11, s0, v1 clamp
	v_mov_b32_e32 v14, 0x77
	v_cmp_eq_u32_e32 vcc, 0, v1
	v_or_b32_e32 v13, 0x800000, v0
	v_cndmask_b32_e32 v11, v11, v14, vcc
	v_cndmask_b32_e32 v14, v13, v0, vcc
	v_add_u32_e32 v0, 20, v11
	v_add_u32_e32 v18, 0xffffff89, v1
	v_lshlrev_b64 v[0:1], v0, -1
	v_mov_b32_e32 v15, 0
	v_not_b32_e32 v0, v0
	v_add_u32_e32 v13, 19, v11
	v_and_b32_e32 v0, v14, v0
	v_mov_b32_e32 v1, v15
	v_lshlrev_b64 v[16:17], v13, 1
	v_cmp_eq_u64_e64 s[0:1], v[0:1], v[16:17]
	v_lshrrev_b64 v[0:1], v11, v[14:15]
	v_mov_b32_e32 v13, 0xffffff8a
	v_cndmask_b32_e32 v13, v18, v13, vcc
	v_lshrrev_b32_e32 v14, 23, v0
	v_add3_u32 v13, v13, v11, v14
	v_and_b32_e32 v14, 0x100000, v0
	v_cmp_eq_u64_e32 vcc, 0, v[14:15]
	s_and_b64 vcc, vcc, s[0:1]
	v_subbrev_co_u32_e32 v11, vcc, 0, v0, vcc
	v_and_b32_e32 v11, 0xfffff, v11
	v_add_co_u32_e32 v0, vcc, v11, v0
	v_add_u32_e32 v16, -1, v13
	v_addc_co_u32_e32 v1, vcc, 0, v1, vcc
	v_cmp_ne_u32_e32 vcc, 0, v16
                                        ; implicit-def: $vgpr11
	s_and_saveexec_b64 s[0:1], vcc
	s_xor_b64 s[0:1], exec, s[0:1]
; %bb.37:
	v_and_b32_e32 v14, 0x1000000, v0
	v_cmp_eq_u64_e32 vcc, 0, v[14:15]
	v_cndmask_b32_e32 v11, v13, v16, vcc
	v_bfe_u32 v13, v0, 24, 1
	v_lshrrev_b64 v[0:1], v13, v[0:1]
; %bb.38:
	s_andn2_saveexec_b64 s[0:1], s[0:1]
; %bb.39:
	v_bfe_u32 v11, v0, 23, 1
; %bb.40:
	s_or_b64 exec, exec, s[0:1]
	s_movk_i32 s0, 0x80
	v_lshrrev_b64 v[0:1], 20, v[0:1]
	v_cmp_gt_i32_e32 vcc, 16, v11
	v_and_b32_sdwa v9, v9, s0 dst_sel:DWORD dst_unused:UNUSED_PAD src0_sel:BYTE_3 src1_sel:DWORD
	v_min_i32_e32 v13, 15, v11
	v_cndmask_b32_e32 v1, 0, v1, vcc
	v_cndmask_b32_e32 v0, 7, v0, vcc
	v_cmp_eq_u32_e32 vcc, 0, v11
	v_cmp_eq_u64_e64 s[0:1], 0, v[0:1]
	v_lshl_or_b32 v1, v13, 3, v9
	v_and_or_b32 v0, v0, 7, v1
	s_and_b64 s[0:1], vcc, s[0:1]
	v_cndmask_b32_e64 v0, v0, 0, s[0:1]
.LBB4_41:
	s_or_b64 exec, exec, s[22:23]
.LBB4_42:
	s_andn2_saveexec_b64 s[0:1], s[20:21]
	s_or_b64 exec, exec, s[0:1]
.LBB4_43:
	s_andn2_saveexec_b64 s[0:1], s[8:9]
	s_or_b64 exec, exec, s[0:1]
	v_and_b32_e32 v1, 0xffff, v2
	;;#ASMSTART
	v_cvt_f32_f16 v1, v1;
	;;#ASMEND
	v_mul_f32_e32 v1, v24, v1
	v_min_f32_e32 v1, 0x43600000, v1
	v_max_f32_e32 v1, 0xc3600000, v1
	s_movk_i32 s0, 0x7f
	v_mov_b32_e32 v17, 0
	v_or_b32_sdwa v14, v1, s0 dst_sel:DWORD dst_unused:UNUSED_PAD src0_sel:BYTE_3 src1_sel:DWORD
	v_and_b32_e32 v16, 0x7f800000, v1
	s_mov_b64 s[0:1], 0x7f800000
	v_cmp_ne_u64_e32 vcc, s[0:1], v[16:17]
	s_and_saveexec_b64 s[0:1], vcc
	s_xor_b64 s[8:9], exec, s[0:1]
	s_cbranch_execz .LBB4_53
; %bb.44:
	v_and_b32_e32 v16, 0x7fffffff, v1
	s_mov_b64 s[0:1], 0x43700001
	v_cmp_gt_u64_e32 vcc, s[0:1], v[16:17]
	s_and_saveexec_b64 s[0:1], vcc
	s_xor_b64 s[20:21], exec, s[0:1]
	s_cbranch_execz .LBB4_52
; %bb.45:
	v_cmp_ne_u32_e32 vcc, 0, v1
	v_pk_mov_b32 v[14:15], 0, 0
	s_and_saveexec_b64 s[22:23], vcc
	s_cbranch_execz .LBB4_51
; %bb.46:
	v_bfe_u32 v11, v1, 23, 8
	s_movk_i32 s0, 0x78
	v_and_b32_e32 v9, 0x7fffff, v1
	v_sub_u32_e64 v13, s0, v11 clamp
	v_mov_b32_e32 v15, 0x77
	v_cmp_eq_u32_e32 vcc, 0, v11
	v_or_b32_e32 v14, 0x800000, v9
	v_add_u32_e32 v20, 0xffffff89, v11
	v_cndmask_b32_e32 v11, v13, v15, vcc
	v_cndmask_b32_e32 v16, v14, v9, vcc
	v_add_u32_e32 v9, 20, v11
	v_lshlrev_b64 v[14:15], v9, -1
	v_not_b32_e32 v9, v14
	v_mov_b32_e32 v17, 0
	v_and_b32_e32 v14, v16, v9
	v_add_u32_e32 v9, 19, v11
	v_mov_b32_e32 v15, v17
	v_lshlrev_b64 v[18:19], v9, 1
	v_cmp_eq_u64_e64 s[0:1], v[14:15], v[18:19]
	v_lshrrev_b64 v[14:15], v11, v[16:17]
	v_mov_b32_e32 v9, 0xffffff8a
	v_and_b32_e32 v16, 0x100000, v14
	v_cndmask_b32_e32 v9, v20, v9, vcc
	v_cmp_eq_u64_e32 vcc, 0, v[16:17]
	v_lshrrev_b32_e32 v13, 23, v14
	s_and_b64 vcc, vcc, s[0:1]
	v_add3_u32 v11, v9, v11, v13
	v_subbrev_co_u32_e32 v9, vcc, 0, v14, vcc
	v_and_b32_e32 v9, 0xfffff, v9
	v_add_co_u32_e32 v14, vcc, v9, v14
	v_add_u32_e32 v13, -1, v11
	v_addc_co_u32_e32 v15, vcc, 0, v15, vcc
	v_cmp_ne_u32_e32 vcc, 0, v13
                                        ; implicit-def: $vgpr9
	s_and_saveexec_b64 s[0:1], vcc
	s_xor_b64 s[0:1], exec, s[0:1]
; %bb.47:
	v_and_b32_e32 v16, 0x1000000, v14
	v_cmp_eq_u64_e32 vcc, 0, v[16:17]
	v_cndmask_b32_e32 v9, v11, v13, vcc
	v_bfe_u32 v11, v14, 24, 1
	v_lshrrev_b64 v[14:15], v11, v[14:15]
; %bb.48:
	s_andn2_saveexec_b64 s[0:1], s[0:1]
; %bb.49:
	v_bfe_u32 v9, v14, 23, 1
; %bb.50:
	s_or_b64 exec, exec, s[0:1]
	s_movk_i32 s0, 0x80
	v_lshrrev_b64 v[14:15], 20, v[14:15]
	v_cmp_gt_i32_e32 vcc, 16, v9
	v_and_b32_sdwa v1, v1, s0 dst_sel:DWORD dst_unused:UNUSED_PAD src0_sel:BYTE_3 src1_sel:DWORD
	v_min_i32_e32 v11, 15, v9
	v_cndmask_b32_e32 v15, 0, v15, vcc
	v_cndmask_b32_e32 v14, 7, v14, vcc
	v_cmp_eq_u32_e32 vcc, 0, v9
	v_cmp_eq_u64_e64 s[0:1], 0, v[14:15]
	v_lshl_or_b32 v1, v11, 3, v1
	v_and_or_b32 v1, v14, 7, v1
	s_and_b64 s[0:1], vcc, s[0:1]
	v_cndmask_b32_e64 v14, v1, 0, s[0:1]
.LBB4_51:
	s_or_b64 exec, exec, s[22:23]
.LBB4_52:
	s_andn2_saveexec_b64 s[0:1], s[20:21]
	s_or_b64 exec, exec, s[0:1]
.LBB4_53:
	s_andn2_saveexec_b64 s[0:1], s[8:9]
	s_or_b64 exec, exec, s[0:1]
	v_lshrrev_b32_e32 v1, 16, v2
	;;#ASMSTART
	v_cvt_f32_f16 v1, v1;
	;;#ASMEND
	v_mul_f32_e32 v1, v24, v1
	v_min_f32_e32 v1, 0x43600000, v1
	v_max_f32_e32 v1, 0xc3600000, v1
	s_movk_i32 s0, 0x7f
	v_mov_b32_e32 v19, 0
	v_or_b32_sdwa v16, v1, s0 dst_sel:DWORD dst_unused:UNUSED_PAD src0_sel:BYTE_3 src1_sel:DWORD
	v_and_b32_e32 v18, 0x7f800000, v1
	s_mov_b64 s[0:1], 0x7f800000
	v_cmp_ne_u64_e32 vcc, s[0:1], v[18:19]
	s_and_saveexec_b64 s[0:1], vcc
	s_xor_b64 s[8:9], exec, s[0:1]
	s_cbranch_execz .LBB4_63
; %bb.54:
	v_and_b32_e32 v18, 0x7fffffff, v1
	s_mov_b64 s[0:1], 0x43700001
	v_cmp_gt_u64_e32 vcc, s[0:1], v[18:19]
	s_and_saveexec_b64 s[0:1], vcc
	s_xor_b64 s[20:21], exec, s[0:1]
	s_cbranch_execz .LBB4_62
; %bb.55:
	v_cmp_ne_u32_e32 vcc, 0, v1
	v_pk_mov_b32 v[16:17], 0, 0
	s_and_saveexec_b64 s[22:23], vcc
	s_cbranch_execz .LBB4_61
; %bb.56:
	v_bfe_u32 v9, v1, 23, 8
	s_movk_i32 s0, 0x78
	v_and_b32_e32 v2, 0x7fffff, v1
	v_sub_u32_e64 v11, s0, v9 clamp
	v_mov_b32_e32 v16, 0x77
	v_cmp_eq_u32_e32 vcc, 0, v9
	v_or_b32_e32 v13, 0x800000, v2
	v_add_u32_e32 v15, 0xffffff89, v9
	v_cndmask_b32_e32 v9, v11, v16, vcc
	v_cndmask_b32_e32 v18, v13, v2, vcc
	v_add_u32_e32 v2, 20, v9
	v_lshlrev_b64 v[16:17], v2, -1
	v_not_b32_e32 v2, v16
	v_mov_b32_e32 v19, 0
	v_and_b32_e32 v16, v18, v2
	v_add_u32_e32 v2, 19, v9
	v_mov_b32_e32 v17, v19
	v_lshlrev_b64 v[20:21], v2, 1
	v_cmp_eq_u64_e64 s[0:1], v[16:17], v[20:21]
	v_lshrrev_b64 v[16:17], v9, v[18:19]
	v_mov_b32_e32 v2, 0xffffff8a
	v_and_b32_e32 v18, 0x100000, v16
	v_cndmask_b32_e32 v2, v15, v2, vcc
	v_cmp_eq_u64_e32 vcc, 0, v[18:19]
	v_lshrrev_b32_e32 v11, 23, v16
	s_and_b64 vcc, vcc, s[0:1]
	v_add3_u32 v9, v2, v9, v11
	v_subbrev_co_u32_e32 v2, vcc, 0, v16, vcc
	v_and_b32_e32 v2, 0xfffff, v2
	v_add_co_u32_e32 v16, vcc, v2, v16
	v_add_u32_e32 v11, -1, v9
	v_addc_co_u32_e32 v17, vcc, 0, v17, vcc
	v_cmp_ne_u32_e32 vcc, 0, v11
                                        ; implicit-def: $vgpr2
	s_and_saveexec_b64 s[0:1], vcc
	s_xor_b64 s[0:1], exec, s[0:1]
; %bb.57:
	v_and_b32_e32 v18, 0x1000000, v16
	v_cmp_eq_u64_e32 vcc, 0, v[18:19]
	v_cndmask_b32_e32 v2, v9, v11, vcc
	v_bfe_u32 v9, v16, 24, 1
	v_lshrrev_b64 v[16:17], v9, v[16:17]
; %bb.58:
	s_andn2_saveexec_b64 s[0:1], s[0:1]
; %bb.59:
	v_bfe_u32 v2, v16, 23, 1
; %bb.60:
	s_or_b64 exec, exec, s[0:1]
	s_movk_i32 s0, 0x80
	v_lshrrev_b64 v[16:17], 20, v[16:17]
	v_cmp_gt_i32_e32 vcc, 16, v2
	v_and_b32_sdwa v1, v1, s0 dst_sel:DWORD dst_unused:UNUSED_PAD src0_sel:BYTE_3 src1_sel:DWORD
	v_min_i32_e32 v9, 15, v2
	v_cndmask_b32_e32 v17, 0, v17, vcc
	v_cndmask_b32_e32 v16, 7, v16, vcc
	v_cmp_eq_u32_e32 vcc, 0, v2
	v_cmp_eq_u64_e64 s[0:1], 0, v[16:17]
	v_lshl_or_b32 v1, v9, 3, v1
	v_and_or_b32 v1, v16, 7, v1
	s_and_b64 s[0:1], vcc, s[0:1]
	v_cndmask_b32_e64 v16, v1, 0, s[0:1]
.LBB4_61:
	s_or_b64 exec, exec, s[22:23]
.LBB4_62:
	s_andn2_saveexec_b64 s[0:1], s[20:21]
	s_or_b64 exec, exec, s[0:1]
.LBB4_63:
	s_andn2_saveexec_b64 s[0:1], s[8:9]
	s_or_b64 exec, exec, s[0:1]
	v_and_b32_e32 v1, 0xffff, v3
	;;#ASMSTART
	v_cvt_f32_f16 v1, v1;
	;;#ASMEND
	v_mul_f32_e32 v1, v24, v1
	v_min_f32_e32 v1, 0x43600000, v1
	v_max_f32_e32 v1, 0xc3600000, v1
	s_movk_i32 s0, 0x7f
	v_mov_b32_e32 v21, 0
	v_or_b32_sdwa v18, v1, s0 dst_sel:DWORD dst_unused:UNUSED_PAD src0_sel:BYTE_3 src1_sel:DWORD
	v_and_b32_e32 v20, 0x7f800000, v1
	s_mov_b64 s[0:1], 0x7f800000
	v_cmp_ne_u64_e32 vcc, s[0:1], v[20:21]
	s_and_saveexec_b64 s[0:1], vcc
	s_xor_b64 s[8:9], exec, s[0:1]
	s_cbranch_execz .LBB4_73
; %bb.64:
	v_and_b32_e32 v20, 0x7fffffff, v1
	s_mov_b64 s[0:1], 0x43700001
	v_cmp_gt_u64_e32 vcc, s[0:1], v[20:21]
	s_and_saveexec_b64 s[0:1], vcc
	s_xor_b64 s[20:21], exec, s[0:1]
	s_cbranch_execz .LBB4_72
; %bb.65:
	v_cmp_ne_u32_e32 vcc, 0, v1
	v_pk_mov_b32 v[18:19], 0, 0
	s_and_saveexec_b64 s[22:23], vcc
	s_cbranch_execz .LBB4_71
; %bb.66:
	v_bfe_u32 v9, v1, 23, 8
	s_movk_i32 s0, 0x78
	v_and_b32_e32 v2, 0x7fffff, v1
	v_sub_u32_e64 v11, s0, v9 clamp
	v_mov_b32_e32 v17, 0x77
	v_cmp_eq_u32_e32 vcc, 0, v9
	v_or_b32_e32 v13, 0x800000, v2
	v_add_u32_e32 v15, 0xffffff89, v9
	v_cndmask_b32_e32 v9, v11, v17, vcc
	v_cndmask_b32_e32 v20, v13, v2, vcc
	v_add_u32_e32 v2, 20, v9
	v_lshlrev_b64 v[18:19], v2, -1
	v_not_b32_e32 v2, v18
	v_mov_b32_e32 v21, 0
	v_and_b32_e32 v18, v20, v2
	v_add_u32_e32 v2, 19, v9
	v_mov_b32_e32 v19, v21
	v_lshlrev_b64 v[26:27], v2, 1
	v_cmp_eq_u64_e64 s[0:1], v[18:19], v[26:27]
	v_lshrrev_b64 v[18:19], v9, v[20:21]
	v_mov_b32_e32 v2, 0xffffff8a
	v_and_b32_e32 v20, 0x100000, v18
	v_cndmask_b32_e32 v2, v15, v2, vcc
	v_cmp_eq_u64_e32 vcc, 0, v[20:21]
	v_lshrrev_b32_e32 v11, 23, v18
	s_and_b64 vcc, vcc, s[0:1]
	v_add3_u32 v9, v2, v9, v11
	v_subbrev_co_u32_e32 v2, vcc, 0, v18, vcc
	v_and_b32_e32 v2, 0xfffff, v2
	v_add_co_u32_e32 v18, vcc, v2, v18
	v_add_u32_e32 v11, -1, v9
	v_addc_co_u32_e32 v19, vcc, 0, v19, vcc
	v_cmp_ne_u32_e32 vcc, 0, v11
                                        ; implicit-def: $vgpr2
	s_and_saveexec_b64 s[0:1], vcc
	s_xor_b64 s[0:1], exec, s[0:1]
; %bb.67:
	v_and_b32_e32 v20, 0x1000000, v18
	v_cmp_eq_u64_e32 vcc, 0, v[20:21]
	v_cndmask_b32_e32 v2, v9, v11, vcc
	v_bfe_u32 v9, v18, 24, 1
	v_lshrrev_b64 v[18:19], v9, v[18:19]
; %bb.68:
	s_andn2_saveexec_b64 s[0:1], s[0:1]
; %bb.69:
	v_bfe_u32 v2, v18, 23, 1
; %bb.70:
	s_or_b64 exec, exec, s[0:1]
	s_movk_i32 s0, 0x80
	v_lshrrev_b64 v[18:19], 20, v[18:19]
	v_cmp_gt_i32_e32 vcc, 16, v2
	v_and_b32_sdwa v1, v1, s0 dst_sel:DWORD dst_unused:UNUSED_PAD src0_sel:BYTE_3 src1_sel:DWORD
	v_min_i32_e32 v9, 15, v2
	v_cndmask_b32_e32 v19, 0, v19, vcc
	v_cndmask_b32_e32 v18, 7, v18, vcc
	v_cmp_eq_u32_e32 vcc, 0, v2
	v_cmp_eq_u64_e64 s[0:1], 0, v[18:19]
	v_lshl_or_b32 v1, v9, 3, v1
	v_and_or_b32 v1, v18, 7, v1
	s_and_b64 s[0:1], vcc, s[0:1]
	v_cndmask_b32_e64 v18, v1, 0, s[0:1]
.LBB4_71:
	s_or_b64 exec, exec, s[22:23]
.LBB4_72:
	s_andn2_saveexec_b64 s[0:1], s[20:21]
	s_or_b64 exec, exec, s[0:1]
.LBB4_73:
	s_andn2_saveexec_b64 s[0:1], s[8:9]
	s_or_b64 exec, exec, s[0:1]
	v_lshrrev_b32_e32 v1, 16, v3
	;;#ASMSTART
	v_cvt_f32_f16 v1, v1;
	;;#ASMEND
	v_mul_f32_e32 v1, v24, v1
	v_min_f32_e32 v1, 0x43600000, v1
	v_max_f32_e32 v1, 0xc3600000, v1
	s_movk_i32 s0, 0x7f
	v_mov_b32_e32 v21, 0
	v_or_b32_sdwa v2, v1, s0 dst_sel:DWORD dst_unused:UNUSED_PAD src0_sel:BYTE_3 src1_sel:DWORD
	v_and_b32_e32 v20, 0x7f800000, v1
	s_mov_b64 s[0:1], 0x7f800000
	v_cmp_ne_u64_e32 vcc, s[0:1], v[20:21]
	s_and_saveexec_b64 s[0:1], vcc
	s_xor_b64 s[8:9], exec, s[0:1]
	s_cbranch_execz .LBB4_83
; %bb.74:
	v_and_b32_e32 v20, 0x7fffffff, v1
	s_mov_b64 s[0:1], 0x43700001
	v_cmp_gt_u64_e32 vcc, s[0:1], v[20:21]
	s_and_saveexec_b64 s[0:1], vcc
	s_xor_b64 s[20:21], exec, s[0:1]
	s_cbranch_execz .LBB4_82
; %bb.75:
	v_cmp_ne_u32_e32 vcc, 0, v1
	v_pk_mov_b32 v[2:3], 0, 0
	s_and_saveexec_b64 s[22:23], vcc
	s_cbranch_execz .LBB4_81
; %bb.76:
	v_bfe_u32 v3, v1, 23, 8
	s_movk_i32 s0, 0x78
	v_and_b32_e32 v2, 0x7fffff, v1
	v_sub_u32_e64 v9, s0, v3 clamp
	v_mov_b32_e32 v15, 0x77
	v_cmp_eq_u32_e32 vcc, 0, v3
	v_or_b32_e32 v11, 0x800000, v2
	v_cndmask_b32_e32 v9, v9, v15, vcc
	v_cndmask_b32_e32 v20, v11, v2, vcc
	v_add_u32_e32 v2, 20, v9
	v_add_u32_e32 v13, 0xffffff89, v3
	v_lshlrev_b64 v[2:3], v2, -1
	v_mov_b32_e32 v21, 0
	v_not_b32_e32 v2, v2
	v_add_u32_e32 v11, 19, v9
	v_and_b32_e32 v2, v20, v2
	v_mov_b32_e32 v3, v21
	v_lshlrev_b64 v[24:25], v11, 1
	v_cmp_eq_u64_e64 s[0:1], v[2:3], v[24:25]
	v_lshrrev_b64 v[2:3], v9, v[20:21]
	v_mov_b32_e32 v11, 0xffffff8a
	v_and_b32_e32 v20, 0x100000, v2
	v_cndmask_b32_e32 v11, v13, v11, vcc
	v_cmp_eq_u64_e32 vcc, 0, v[20:21]
	v_lshrrev_b32_e32 v13, 23, v2
	s_and_b64 vcc, vcc, s[0:1]
	v_add3_u32 v11, v11, v9, v13
	v_subbrev_co_u32_e32 v9, vcc, 0, v2, vcc
	v_and_b32_e32 v9, 0xfffff, v9
	v_add_co_u32_e32 v2, vcc, v9, v2
	v_add_u32_e32 v13, -1, v11
	v_addc_co_u32_e32 v3, vcc, 0, v3, vcc
	v_cmp_ne_u32_e32 vcc, 0, v13
                                        ; implicit-def: $vgpr9
	s_and_saveexec_b64 s[0:1], vcc
	s_xor_b64 s[0:1], exec, s[0:1]
; %bb.77:
	v_and_b32_e32 v20, 0x1000000, v2
	v_cmp_eq_u64_e32 vcc, 0, v[20:21]
	v_cndmask_b32_e32 v9, v11, v13, vcc
	v_bfe_u32 v11, v2, 24, 1
	v_lshrrev_b64 v[2:3], v11, v[2:3]
; %bb.78:
	s_andn2_saveexec_b64 s[0:1], s[0:1]
; %bb.79:
	v_bfe_u32 v9, v2, 23, 1
; %bb.80:
	s_or_b64 exec, exec, s[0:1]
	s_movk_i32 s0, 0x80
	v_lshrrev_b64 v[2:3], 20, v[2:3]
	v_cmp_gt_i32_e32 vcc, 16, v9
	v_and_b32_sdwa v1, v1, s0 dst_sel:DWORD dst_unused:UNUSED_PAD src0_sel:BYTE_3 src1_sel:DWORD
	v_min_i32_e32 v11, 15, v9
	v_cndmask_b32_e32 v3, 0, v3, vcc
	v_cndmask_b32_e32 v2, 7, v2, vcc
	v_cmp_eq_u32_e32 vcc, 0, v9
	v_cmp_eq_u64_e64 s[0:1], 0, v[2:3]
	v_lshl_or_b32 v1, v11, 3, v1
	v_and_or_b32 v1, v2, 7, v1
	s_and_b64 s[0:1], vcc, s[0:1]
	v_cndmask_b32_e64 v2, v1, 0, s[0:1]
.LBB4_81:
	s_or_b64 exec, exec, s[22:23]
.LBB4_82:
	s_andn2_saveexec_b64 s[0:1], s[20:21]
	s_or_b64 exec, exec, s[0:1]
.LBB4_83:
	s_andn2_saveexec_b64 s[0:1], s[8:9]
	s_or_b64 exec, exec, s[0:1]
	v_lshlrev_b32_e32 v1, 24, v2
	v_lshlrev_b32_e32 v2, 16, v18
	v_and_b32_e32 v2, 0xff0000, v2
	v_or_b32_e32 v1, v1, v2
	v_lshlrev_b32_e32 v2, 8, v16
	v_and_b32_e32 v2, 0xff00, v2
	v_and_b32_e32 v3, 0xff, v14
	v_or3_b32 v1, v1, v2, v3
	v_lshlrev_b32_e32 v2, 16, v12
	s_mov_b32 s1, 0x4020c0c
	v_lshlrev_b64 v[20:21], 3, v[4:5]
	s_mov_b32 s0, 0xff00
	v_lshlrev_b32_e32 v3, 8, v10
	v_perm_b32 v0, v0, v2, s1
	v_add_co_u32_e32 v20, vcc, v22, v20
	v_and_or_b32 v0, v3, s0, v0
	v_addc_co_u32_e32 v21, vcc, v23, v21, vcc
	v_or_b32_sdwa v0, v0, v8 dst_sel:DWORD dst_unused:UNUSED_PAD src0_sel:DWORD src1_sel:BYTE_0
	global_store_dwordx2 v[20:21], v[0:1], off
.LBB4_84:
	s_or_b64 exec, exec, s[6:7]
	s_cmp_lg_u64 s[10:11], 0
	s_cselect_b64 s[0:1], -1, 0
	v_cmp_eq_u32_e32 vcc, 0, v4
	s_and_b64 s[6:7], s[0:1], vcc
	s_and_saveexec_b64 s[0:1], s[6:7]
	s_cbranch_execz .LBB4_86
; %bb.85:
	v_mad_u64_u32 v[0:1], s[6:7], v7, s16, v[6:7]
	v_mov_b32_e32 v1, 0
	v_lshlrev_b64 v[0:1], 2, v[0:1]
	v_mov_b32_e32 v3, s3
	v_add_co_u32_e32 v2, vcc, s2, v0
	v_addc_co_u32_e32 v3, vcc, v3, v1, vcc
	global_load_dword v2, v[2:3], off
	v_mov_b32_e32 v3, s11
	v_add_co_u32_e32 v0, vcc, s10, v0
	v_addc_co_u32_e32 v1, vcc, v3, v1, vcc
	s_waitcnt vmcnt(0)
	global_store_dword v[0:1], v2, off
.LBB4_86:
	s_or_b64 exec, exec, s[0:1]
                                        ; implicit-def: $vgpr4
                                        ; implicit-def: $vgpr6
                                        ; implicit-def: $vgpr7
                                        ; implicit-def: $vgpr5
                                        ; implicit-def: $vgpr0_vgpr1
                                        ; implicit-def: $vgpr24
                                        ; implicit-def: $vgpr2
                                        ; implicit-def: $vgpr3
                                        ; implicit-def: $vgpr22
                                        ; implicit-def: $vgpr23
.LBB4_87:
	s_andn2_saveexec_b64 s[0:1], s[4:5]
	s_cbranch_execz .LBB4_259
; %bb.88:
	v_mad_u64_u32 v[6:7], s[0:1], v7, s16, v[6:7]
	v_mov_b32_e32 v7, 0
	v_lshlrev_b64 v[6:7], 2, v[6:7]
	v_mov_b32_e32 v9, s15
	v_add_co_u32_e32 v8, vcc, s14, v6
	v_addc_co_u32_e32 v9, vcc, v9, v7, vcc
	global_load_dword v10, v[8:9], off
	v_mov_b32_e32 v9, s3
	v_add_co_u32_e32 v8, vcc, s2, v6
	v_addc_co_u32_e32 v9, vcc, v9, v7, vcc
	global_load_dword v8, v[8:9], off
	v_mov_b32_e32 v9, s13
	v_add_co_u32_e32 v0, vcc, s12, v0
	s_mov_b32 s0, 0x7f800000
	v_addc_co_u32_e32 v1, vcc, v9, v1, vcc
	v_mov_b32_e32 v11, 0xff800000
	s_waitcnt vmcnt(1)
	v_cmp_neq_f32_e64 vcc, |v10|, s0
	v_cndmask_b32_e32 v9, v11, v10, vcc
	v_max_f32_e32 v10, v9, v9
	s_waitcnt vmcnt(0)
	v_cmp_neq_f32_e64 vcc, |v8|, s0
	v_cndmask_b32_e32 v8, v11, v8, vcc
	v_max_f32_e32 v11, v8, v8
	v_max_f32_e32 v25, v10, v11
	v_cmp_neq_f32_e64 s[0:1], |v25|, s0
	s_and_saveexec_b64 s[2:3], s[0:1]
	s_xor_b64 s[2:3], exec, s[2:3]
	s_cbranch_execz .LBB4_174
; %bb.89:
	v_sub_f32_e32 v9, v9, v25
	s_mov_b32 s0, 0x3fb8aa3b
	v_mul_f32_e32 v10, 0x3fb8aa3b, v9
	v_fma_f32 v11, v9, s0, -v10
	v_rndne_f32_e32 v12, v10
	v_fmac_f32_e32 v11, 0x32a5705f, v9
	v_sub_f32_e32 v10, v10, v12
	v_add_f32_e32 v10, v10, v11
	v_exp_f32_e32 v10, v10
	v_cvt_i32_f32_e32 v11, v12
	v_sub_f32_e32 v12, v8, v25
	s_mov_b32 s1, 0xc2ce8ed0
	v_cmp_ngt_f32_e32 vcc, s1, v9
	v_ldexp_f32 v8, v10, v11
	v_mul_f32_e32 v10, 0x3fb8aa3b, v12
	v_fma_f32 v11, v12, s0, -v10
	v_rndne_f32_e32 v13, v10
	v_fmac_f32_e32 v11, 0x32a5705f, v12
	v_sub_f32_e32 v10, v10, v13
	v_add_f32_e32 v10, v10, v11
	v_exp_f32_e32 v10, v10
	v_cvt_i32_f32_e32 v11, v13
	s_mov_b32 s4, 0x42b17218
	v_cndmask_b32_e32 v8, 0, v8, vcc
	v_mov_b32_e32 v13, 0x7f800000
	v_cmp_nlt_f32_e32 vcc, s4, v9
	v_cndmask_b32_e32 v8, v13, v8, vcc
	v_ldexp_f32 v9, v10, v11
	v_cmp_ngt_f32_e32 vcc, s1, v12
	v_cndmask_b32_e32 v9, 0, v9, vcc
	v_cmp_nlt_f32_e32 vcc, s4, v12
	v_cndmask_b32_e32 v9, v13, v9, vcc
	v_add_f32_e32 v26, v8, v9
	v_cmp_gt_u32_e32 vcc, s18, v5
	s_and_saveexec_b64 s[4:5], vcc
	s_cbranch_execz .LBB4_171
; %bb.90:
	v_mov_b32_e32 v5, 0
	v_lshlrev_b64 v[14:15], 4, v[4:5]
	v_add_co_u32_e32 v0, vcc, v0, v14
	v_addc_co_u32_e32 v1, vcc, v1, v15, vcc
	global_load_dwordx4 v[10:13], v[0:1], off
	v_add_co_u32_e32 v0, vcc, v2, v14
	v_addc_co_u32_e32 v1, vcc, v3, v15, vcc
	global_load_dwordx4 v[0:3], v[0:1], off
	v_div_scale_f32 v14, s[0:1], v26, v26, v9
	v_div_scale_f32 v16, s[0:1], v26, v26, v8
	v_rcp_f32_e32 v18, v14
	v_rcp_f32_e32 v19, v16
	v_div_scale_f32 v15, vcc, v9, v26, v9
	v_fma_f32 v20, -v14, v18, 1.0
	v_fma_f32 v21, -v16, v19, 1.0
	v_fmac_f32_e32 v18, v20, v18
	v_div_scale_f32 v17, s[0:1], v8, v26, v8
	v_fmac_f32_e32 v19, v21, v19
	v_mul_f32_e32 v20, v15, v18
	v_mul_f32_e32 v21, v17, v19
	v_fma_f32 v27, -v14, v20, v15
	v_fma_f32 v28, -v16, v21, v17
	v_fmac_f32_e32 v20, v27, v18
	v_fmac_f32_e32 v21, v28, v19
	v_fma_f32 v14, -v14, v20, v15
	v_fma_f32 v15, -v16, v21, v17
	v_div_fmas_f32 v14, v14, v18, v20
	s_mov_b64 vcc, s[0:1]
	v_div_fixup_f32 v20, v14, v26, v9
	v_div_fmas_f32 v9, v15, v19, v21
	v_div_fixup_f32 v21, v9, v26, v8
	s_movk_i32 s6, 0x7f
	v_mov_b32_e32 v31, v5
	s_mov_b64 s[0:1], 0x7f800000
	s_waitcnt vmcnt(1)
	v_lshrrev_b32_e32 v8, 16, v10
	v_and_b32_e32 v10, 0xffff, v10
	;;#ASMSTART
	v_cvt_f32_f16 v29, v10;
	;;#ASMEND
	v_lshrrev_b32_e32 v14, 16, v11
	v_lshrrev_b32_e32 v16, 16, v12
	s_waitcnt vmcnt(0)
	v_lshrrev_b32_e32 v9, 16, v0
	v_and_b32_e32 v0, 0xffff, v0
	;;#ASMSTART
	v_cvt_f32_f16 v0, v0;
	;;#ASMEND
	v_mul_f32_e32 v0, v20, v0
	v_fmac_f32_e32 v0, v21, v29
	v_mul_f32_e32 v0, v24, v0
	v_min_f32_e32 v0, 0x43600000, v0
	v_max_f32_e32 v29, 0xc3600000, v0
	v_and_b32_e32 v30, 0x7f800000, v29
	v_lshrrev_b32_e32 v27, 16, v13
	v_lshrrev_b32_e32 v15, 16, v1
	;; [unrolled: 1-line block ×4, first 2 shown]
	v_and_b32_e32 v11, 0xffff, v11
	v_and_b32_e32 v18, 0xffff, v12
	v_and_b32_e32 v19, 0xffff, v13
	v_or_b32_sdwa v0, v29, s6 dst_sel:DWORD dst_unused:UNUSED_PAD src0_sel:BYTE_3 src1_sel:DWORD
	v_cmp_ne_u64_e32 vcc, s[0:1], v[30:31]
	v_and_b32_e32 v1, 0xffff, v1
	v_and_b32_e32 v2, 0xffff, v2
	;; [unrolled: 1-line block ×3, first 2 shown]
	;;#ASMSTART
	v_cvt_f32_f16 v8, v8;
	;;#ASMEND
	;;#ASMSTART
	v_cvt_f32_f16 v9, v9;
	;;#ASMEND
	;; [unrolled: 3-line block ×14, first 2 shown]
	s_and_saveexec_b64 s[0:1], vcc
	s_xor_b64 s[6:7], exec, s[0:1]
	s_cbranch_execz .LBB4_100
; %bb.91:
	v_and_b32_e32 v2, 0x7fffffff, v29
	v_mov_b32_e32 v3, v5
	s_mov_b64 s[0:1], 0x43700001
	v_cmp_gt_u64_e32 vcc, s[0:1], v[2:3]
	s_and_saveexec_b64 s[0:1], vcc
	s_xor_b64 s[8:9], exec, s[0:1]
	s_cbranch_execz .LBB4_99
; %bb.92:
	v_cmp_ne_u32_e32 vcc, 0, v29
	v_pk_mov_b32 v[0:1], 0, 0
	s_and_saveexec_b64 s[12:13], vcc
	s_cbranch_execz .LBB4_98
; %bb.93:
	v_bfe_u32 v1, v29, 23, 8
	s_movk_i32 s0, 0x78
	v_and_b32_e32 v0, 0x7fffff, v29
	v_sub_u32_e64 v2, s0, v1 clamp
	v_mov_b32_e32 v30, 0x77
	v_cmp_eq_u32_e32 vcc, 0, v1
	v_or_b32_e32 v3, 0x800000, v0
	v_cndmask_b32_e32 v33, v2, v30, vcc
	v_cndmask_b32_e32 v2, v3, v0, vcc
	v_add_u32_e32 v0, 20, v33
	v_add_u32_e32 v32, 0xffffff89, v1
	v_lshlrev_b64 v[0:1], v0, -1
	v_mov_b32_e32 v3, 0
	v_not_b32_e32 v0, v0
	v_add_u32_e32 v30, 19, v33
	v_and_b32_e32 v0, v2, v0
	v_mov_b32_e32 v1, v3
	v_lshlrev_b64 v[30:31], v30, 1
	v_cmp_eq_u64_e64 s[0:1], v[0:1], v[30:31]
	v_lshrrev_b64 v[0:1], v33, v[2:3]
	v_mov_b32_e32 v2, 0xffffff8a
	v_cndmask_b32_e32 v2, v32, v2, vcc
	v_lshrrev_b32_e32 v30, 23, v0
	v_add3_u32 v30, v2, v33, v30
	v_and_b32_e32 v2, 0x100000, v0
	v_cmp_eq_u64_e32 vcc, 0, v[2:3]
	s_and_b64 vcc, vcc, s[0:1]
	v_subbrev_co_u32_e32 v2, vcc, 0, v0, vcc
	v_and_b32_e32 v2, 0xfffff, v2
	v_add_co_u32_e32 v0, vcc, v2, v0
	v_add_u32_e32 v31, -1, v30
	v_addc_co_u32_e32 v1, vcc, 0, v1, vcc
	v_cmp_ne_u32_e32 vcc, 0, v31
                                        ; implicit-def: $vgpr2
	s_and_saveexec_b64 s[0:1], vcc
	s_xor_b64 s[0:1], exec, s[0:1]
; %bb.94:
	v_and_b32_e32 v2, 0x1000000, v0
	v_cmp_eq_u64_e32 vcc, 0, v[2:3]
	v_bfe_u32 v3, v0, 24, 1
	v_cndmask_b32_e32 v2, v30, v31, vcc
	v_lshrrev_b64 v[0:1], v3, v[0:1]
; %bb.95:
	s_andn2_saveexec_b64 s[0:1], s[0:1]
; %bb.96:
	v_bfe_u32 v2, v0, 23, 1
; %bb.97:
	s_or_b64 exec, exec, s[0:1]
	s_movk_i32 s0, 0x80
	v_lshrrev_b64 v[0:1], 20, v[0:1]
	v_cmp_gt_i32_e32 vcc, 16, v2
	v_and_b32_sdwa v3, v29, s0 dst_sel:DWORD dst_unused:UNUSED_PAD src0_sel:BYTE_3 src1_sel:DWORD
	v_min_i32_e32 v29, 15, v2
	v_cndmask_b32_e32 v1, 0, v1, vcc
	v_cndmask_b32_e32 v0, 7, v0, vcc
	v_cmp_eq_u32_e32 vcc, 0, v2
	v_cmp_eq_u64_e64 s[0:1], 0, v[0:1]
	v_lshl_or_b32 v1, v29, 3, v3
	v_and_or_b32 v0, v0, 7, v1
	s_and_b64 s[0:1], vcc, s[0:1]
	v_cndmask_b32_e64 v0, v0, 0, s[0:1]
.LBB4_98:
	s_or_b64 exec, exec, s[12:13]
.LBB4_99:
	s_andn2_saveexec_b64 s[0:1], s[8:9]
	s_or_b64 exec, exec, s[0:1]
.LBB4_100:
	s_andn2_saveexec_b64 s[0:1], s[6:7]
	s_or_b64 exec, exec, s[0:1]
	v_mul_f32_e32 v1, v20, v9
	v_fmac_f32_e32 v1, v21, v8
	v_mul_f32_e32 v1, v24, v1
	v_min_f32_e32 v1, 0x43600000, v1
	v_max_f32_e32 v1, 0xc3600000, v1
	s_movk_i32 s0, 0x7f
	v_mov_b32_e32 v9, 0
	v_or_b32_sdwa v2, v1, s0 dst_sel:DWORD dst_unused:UNUSED_PAD src0_sel:BYTE_3 src1_sel:DWORD
	v_and_b32_e32 v8, 0x7f800000, v1
	s_mov_b64 s[0:1], 0x7f800000
	v_cmp_ne_u64_e32 vcc, s[0:1], v[8:9]
	s_and_saveexec_b64 s[0:1], vcc
	s_xor_b64 s[6:7], exec, s[0:1]
	s_cbranch_execz .LBB4_110
; %bb.101:
	v_and_b32_e32 v8, 0x7fffffff, v1
	s_mov_b64 s[0:1], 0x43700001
	v_cmp_gt_u64_e32 vcc, s[0:1], v[8:9]
	s_and_saveexec_b64 s[0:1], vcc
	s_xor_b64 s[8:9], exec, s[0:1]
	s_cbranch_execz .LBB4_109
; %bb.102:
	v_cmp_ne_u32_e32 vcc, 0, v1
	v_pk_mov_b32 v[2:3], 0, 0
	s_and_saveexec_b64 s[12:13], vcc
	s_cbranch_execz .LBB4_108
; %bb.103:
	v_bfe_u32 v3, v1, 23, 8
	s_movk_i32 s0, 0x78
	v_and_b32_e32 v2, 0x7fffff, v1
	v_sub_u32_e64 v8, s0, v3 clamp
	v_mov_b32_e32 v30, 0x77
	v_cmp_eq_u32_e32 vcc, 0, v3
	v_or_b32_e32 v9, 0x800000, v2
	v_cndmask_b32_e32 v32, v8, v30, vcc
	v_cndmask_b32_e32 v8, v9, v2, vcc
	v_add_u32_e32 v2, 20, v32
	v_add_u32_e32 v29, 0xffffff89, v3
	v_lshlrev_b64 v[2:3], v2, -1
	v_mov_b32_e32 v9, 0
	v_not_b32_e32 v2, v2
	v_add_u32_e32 v30, 19, v32
	v_and_b32_e32 v2, v8, v2
	v_mov_b32_e32 v3, v9
	v_lshlrev_b64 v[30:31], v30, 1
	v_cmp_eq_u64_e64 s[0:1], v[2:3], v[30:31]
	v_lshrrev_b64 v[2:3], v32, v[8:9]
	v_mov_b32_e32 v8, 0xffffff8a
	v_cndmask_b32_e32 v8, v29, v8, vcc
	v_lshrrev_b32_e32 v29, 23, v2
	v_add3_u32 v29, v8, v32, v29
	v_and_b32_e32 v8, 0x100000, v2
	v_cmp_eq_u64_e32 vcc, 0, v[8:9]
	s_and_b64 vcc, vcc, s[0:1]
	v_subbrev_co_u32_e32 v8, vcc, 0, v2, vcc
	v_and_b32_e32 v8, 0xfffff, v8
	v_add_co_u32_e32 v2, vcc, v8, v2
	v_add_u32_e32 v30, -1, v29
	v_addc_co_u32_e32 v3, vcc, 0, v3, vcc
	v_cmp_ne_u32_e32 vcc, 0, v30
                                        ; implicit-def: $vgpr8
	s_and_saveexec_b64 s[0:1], vcc
	s_xor_b64 s[0:1], exec, s[0:1]
; %bb.104:
	v_and_b32_e32 v8, 0x1000000, v2
	v_cmp_eq_u64_e32 vcc, 0, v[8:9]
	v_bfe_u32 v9, v2, 24, 1
	v_cndmask_b32_e32 v8, v29, v30, vcc
	v_lshrrev_b64 v[2:3], v9, v[2:3]
; %bb.105:
	s_andn2_saveexec_b64 s[0:1], s[0:1]
; %bb.106:
	v_bfe_u32 v8, v2, 23, 1
; %bb.107:
	s_or_b64 exec, exec, s[0:1]
	s_movk_i32 s0, 0x80
	v_lshrrev_b64 v[2:3], 20, v[2:3]
	v_cmp_gt_i32_e32 vcc, 16, v8
	v_and_b32_sdwa v1, v1, s0 dst_sel:DWORD dst_unused:UNUSED_PAD src0_sel:BYTE_3 src1_sel:DWORD
	v_min_i32_e32 v9, 15, v8
	v_cndmask_b32_e32 v3, 0, v3, vcc
	v_cndmask_b32_e32 v2, 7, v2, vcc
	v_cmp_eq_u32_e32 vcc, 0, v8
	v_cmp_eq_u64_e64 s[0:1], 0, v[2:3]
	v_lshl_or_b32 v1, v9, 3, v1
	v_and_or_b32 v1, v2, 7, v1
	s_and_b64 s[0:1], vcc, s[0:1]
	v_cndmask_b32_e64 v2, v1, 0, s[0:1]
.LBB4_108:
	s_or_b64 exec, exec, s[12:13]
.LBB4_109:
	s_andn2_saveexec_b64 s[0:1], s[8:9]
	s_or_b64 exec, exec, s[0:1]
.LBB4_110:
	s_andn2_saveexec_b64 s[0:1], s[6:7]
	s_or_b64 exec, exec, s[0:1]
	v_mul_f32_e32 v1, v20, v11
	v_fmac_f32_e32 v1, v21, v10
	v_mul_f32_e32 v1, v24, v1
	v_min_f32_e32 v1, 0x43600000, v1
	v_max_f32_e32 v1, 0xc3600000, v1
	s_movk_i32 s0, 0x7f
	v_mov_b32_e32 v11, 0
	v_or_b32_sdwa v8, v1, s0 dst_sel:DWORD dst_unused:UNUSED_PAD src0_sel:BYTE_3 src1_sel:DWORD
	v_and_b32_e32 v10, 0x7f800000, v1
	s_mov_b64 s[0:1], 0x7f800000
	v_cmp_ne_u64_e32 vcc, s[0:1], v[10:11]
	s_and_saveexec_b64 s[0:1], vcc
	s_xor_b64 s[6:7], exec, s[0:1]
	s_cbranch_execz .LBB4_120
; %bb.111:
	v_and_b32_e32 v10, 0x7fffffff, v1
	s_mov_b64 s[0:1], 0x43700001
	v_cmp_gt_u64_e32 vcc, s[0:1], v[10:11]
	s_and_saveexec_b64 s[0:1], vcc
	s_xor_b64 s[8:9], exec, s[0:1]
	s_cbranch_execz .LBB4_119
; %bb.112:
	v_cmp_ne_u32_e32 vcc, 0, v1
	v_pk_mov_b32 v[8:9], 0, 0
	s_and_saveexec_b64 s[12:13], vcc
	s_cbranch_execz .LBB4_118
; %bb.113:
	v_bfe_u32 v8, v1, 23, 8
	s_movk_i32 s0, 0x78
	v_and_b32_e32 v3, 0x7fffff, v1
	v_sub_u32_e64 v9, s0, v8 clamp
	v_mov_b32_e32 v11, 0x77
	v_cmp_eq_u32_e32 vcc, 0, v8
	v_or_b32_e32 v10, 0x800000, v3
	v_cndmask_b32_e32 v32, v9, v11, vcc
	v_cndmask_b32_e32 v10, v10, v3, vcc
	v_add_u32_e32 v3, 20, v32
	v_add_u32_e32 v29, 0xffffff89, v8
	v_lshlrev_b64 v[8:9], v3, -1
	v_not_b32_e32 v3, v8
	v_mov_b32_e32 v11, 0
	v_and_b32_e32 v8, v10, v3
	v_add_u32_e32 v3, 19, v32
	v_mov_b32_e32 v9, v11
	v_lshlrev_b64 v[30:31], v3, 1
	v_cmp_eq_u64_e64 s[0:1], v[8:9], v[30:31]
	v_lshrrev_b64 v[8:9], v32, v[10:11]
	v_mov_b32_e32 v3, 0xffffff8a
	v_cndmask_b32_e32 v3, v29, v3, vcc
	v_lshrrev_b32_e32 v10, 23, v8
	v_add3_u32 v29, v3, v32, v10
	v_and_b32_e32 v10, 0x100000, v8
	v_cmp_eq_u64_e32 vcc, 0, v[10:11]
	s_and_b64 vcc, vcc, s[0:1]
	v_subbrev_co_u32_e32 v3, vcc, 0, v8, vcc
	v_and_b32_e32 v3, 0xfffff, v3
	v_add_co_u32_e32 v8, vcc, v3, v8
	v_add_u32_e32 v30, -1, v29
	v_addc_co_u32_e32 v9, vcc, 0, v9, vcc
	v_cmp_ne_u32_e32 vcc, 0, v30
                                        ; implicit-def: $vgpr3
	s_and_saveexec_b64 s[0:1], vcc
	s_xor_b64 s[0:1], exec, s[0:1]
; %bb.114:
	v_and_b32_e32 v10, 0x1000000, v8
	v_cmp_eq_u64_e32 vcc, 0, v[10:11]
	v_bfe_u32 v10, v8, 24, 1
	v_cndmask_b32_e32 v3, v29, v30, vcc
	v_lshrrev_b64 v[8:9], v10, v[8:9]
; %bb.115:
	s_andn2_saveexec_b64 s[0:1], s[0:1]
; %bb.116:
	v_bfe_u32 v3, v8, 23, 1
; %bb.117:
	s_or_b64 exec, exec, s[0:1]
	s_movk_i32 s0, 0x80
	v_lshrrev_b64 v[8:9], 20, v[8:9]
	v_cmp_gt_i32_e32 vcc, 16, v3
	v_and_b32_sdwa v1, v1, s0 dst_sel:DWORD dst_unused:UNUSED_PAD src0_sel:BYTE_3 src1_sel:DWORD
	v_min_i32_e32 v10, 15, v3
	v_cndmask_b32_e32 v9, 0, v9, vcc
	v_cndmask_b32_e32 v8, 7, v8, vcc
	v_cmp_eq_u32_e32 vcc, 0, v3
	v_cmp_eq_u64_e64 s[0:1], 0, v[8:9]
	v_lshl_or_b32 v1, v10, 3, v1
	v_and_or_b32 v1, v8, 7, v1
	s_and_b64 s[0:1], vcc, s[0:1]
	v_cndmask_b32_e64 v8, v1, 0, s[0:1]
.LBB4_118:
	s_or_b64 exec, exec, s[12:13]
.LBB4_119:
	s_andn2_saveexec_b64 s[0:1], s[8:9]
	s_or_b64 exec, exec, s[0:1]
.LBB4_120:
	s_andn2_saveexec_b64 s[0:1], s[6:7]
	s_or_b64 exec, exec, s[0:1]
	v_mul_f32_e32 v1, v20, v13
	v_fmac_f32_e32 v1, v21, v12
	v_mul_f32_e32 v1, v24, v1
	v_min_f32_e32 v1, 0x43600000, v1
	v_max_f32_e32 v1, 0xc3600000, v1
	s_movk_i32 s0, 0x7f
	v_mov_b32_e32 v13, 0
	v_or_b32_sdwa v10, v1, s0 dst_sel:DWORD dst_unused:UNUSED_PAD src0_sel:BYTE_3 src1_sel:DWORD
	v_and_b32_e32 v12, 0x7f800000, v1
	s_mov_b64 s[0:1], 0x7f800000
	v_cmp_ne_u64_e32 vcc, s[0:1], v[12:13]
	s_and_saveexec_b64 s[0:1], vcc
	s_xor_b64 s[6:7], exec, s[0:1]
	s_cbranch_execz .LBB4_130
; %bb.121:
	v_and_b32_e32 v12, 0x7fffffff, v1
	s_mov_b64 s[0:1], 0x43700001
	v_cmp_gt_u64_e32 vcc, s[0:1], v[12:13]
	s_and_saveexec_b64 s[0:1], vcc
	s_xor_b64 s[8:9], exec, s[0:1]
	s_cbranch_execz .LBB4_129
; %bb.122:
	v_cmp_ne_u32_e32 vcc, 0, v1
	v_pk_mov_b32 v[10:11], 0, 0
	s_and_saveexec_b64 s[12:13], vcc
	s_cbranch_execz .LBB4_128
; %bb.123:
	v_bfe_u32 v9, v1, 23, 8
	s_movk_i32 s0, 0x78
	v_and_b32_e32 v3, 0x7fffff, v1
	v_sub_u32_e64 v10, s0, v9 clamp
	v_mov_b32_e32 v12, 0x77
	v_cmp_eq_u32_e32 vcc, 0, v9
	v_or_b32_e32 v11, 0x800000, v3
	v_add_u32_e32 v29, 0xffffff89, v9
	v_cndmask_b32_e32 v9, v10, v12, vcc
	v_cndmask_b32_e32 v12, v11, v3, vcc
	v_add_u32_e32 v3, 20, v9
	v_lshlrev_b64 v[10:11], v3, -1
	v_not_b32_e32 v3, v10
	v_mov_b32_e32 v13, 0
	v_and_b32_e32 v10, v12, v3
	v_add_u32_e32 v3, 19, v9
	v_mov_b32_e32 v11, v13
	v_lshlrev_b64 v[30:31], v3, 1
	v_cmp_eq_u64_e64 s[0:1], v[10:11], v[30:31]
	v_lshrrev_b64 v[10:11], v9, v[12:13]
	v_mov_b32_e32 v3, 0xffffff8a
	v_cndmask_b32_e32 v3, v29, v3, vcc
	v_lshrrev_b32_e32 v12, 23, v10
	v_add3_u32 v9, v3, v9, v12
	v_and_b32_e32 v12, 0x100000, v10
	v_cmp_eq_u64_e32 vcc, 0, v[12:13]
	s_and_b64 vcc, vcc, s[0:1]
	v_subbrev_co_u32_e32 v3, vcc, 0, v10, vcc
	v_and_b32_e32 v3, 0xfffff, v3
	v_add_co_u32_e32 v10, vcc, v3, v10
	v_add_u32_e32 v29, -1, v9
	v_addc_co_u32_e32 v11, vcc, 0, v11, vcc
	v_cmp_ne_u32_e32 vcc, 0, v29
                                        ; implicit-def: $vgpr3
	s_and_saveexec_b64 s[0:1], vcc
	s_xor_b64 s[0:1], exec, s[0:1]
; %bb.124:
	v_and_b32_e32 v12, 0x1000000, v10
	v_cmp_eq_u64_e32 vcc, 0, v[12:13]
	v_cndmask_b32_e32 v3, v9, v29, vcc
	v_bfe_u32 v9, v10, 24, 1
	v_lshrrev_b64 v[10:11], v9, v[10:11]
; %bb.125:
	s_andn2_saveexec_b64 s[0:1], s[0:1]
; %bb.126:
	v_bfe_u32 v3, v10, 23, 1
; %bb.127:
	s_or_b64 exec, exec, s[0:1]
	s_movk_i32 s0, 0x80
	v_lshrrev_b64 v[10:11], 20, v[10:11]
	v_cmp_gt_i32_e32 vcc, 16, v3
	v_and_b32_sdwa v1, v1, s0 dst_sel:DWORD dst_unused:UNUSED_PAD src0_sel:BYTE_3 src1_sel:DWORD
	v_min_i32_e32 v9, 15, v3
	v_cndmask_b32_e32 v11, 0, v11, vcc
	v_cndmask_b32_e32 v10, 7, v10, vcc
	v_cmp_eq_u32_e32 vcc, 0, v3
	v_cmp_eq_u64_e64 s[0:1], 0, v[10:11]
	v_lshl_or_b32 v1, v9, 3, v1
	v_and_or_b32 v1, v10, 7, v1
	s_and_b64 s[0:1], vcc, s[0:1]
	v_cndmask_b32_e64 v10, v1, 0, s[0:1]
.LBB4_128:
	s_or_b64 exec, exec, s[12:13]
.LBB4_129:
	s_andn2_saveexec_b64 s[0:1], s[8:9]
	s_or_b64 exec, exec, s[0:1]
.LBB4_130:
	s_andn2_saveexec_b64 s[0:1], s[6:7]
	s_or_b64 exec, exec, s[0:1]
	v_mul_f32_e32 v1, v20, v15
	v_fmac_f32_e32 v1, v21, v14
	v_mul_f32_e32 v1, v24, v1
	v_min_f32_e32 v1, 0x43600000, v1
	v_max_f32_e32 v1, 0xc3600000, v1
	s_movk_i32 s0, 0x7f
	v_mov_b32_e32 v15, 0
	v_or_b32_sdwa v12, v1, s0 dst_sel:DWORD dst_unused:UNUSED_PAD src0_sel:BYTE_3 src1_sel:DWORD
	v_and_b32_e32 v14, 0x7f800000, v1
	s_mov_b64 s[0:1], 0x7f800000
	v_cmp_ne_u64_e32 vcc, s[0:1], v[14:15]
	s_and_saveexec_b64 s[0:1], vcc
	s_xor_b64 s[6:7], exec, s[0:1]
	s_cbranch_execz .LBB4_140
; %bb.131:
	v_and_b32_e32 v14, 0x7fffffff, v1
	s_mov_b64 s[0:1], 0x43700001
	v_cmp_gt_u64_e32 vcc, s[0:1], v[14:15]
	s_and_saveexec_b64 s[0:1], vcc
	s_xor_b64 s[8:9], exec, s[0:1]
	s_cbranch_execz .LBB4_139
; %bb.132:
	v_cmp_ne_u32_e32 vcc, 0, v1
	v_pk_mov_b32 v[12:13], 0, 0
	s_and_saveexec_b64 s[12:13], vcc
	s_cbranch_execz .LBB4_138
; %bb.133:
	v_bfe_u32 v9, v1, 23, 8
	s_movk_i32 s0, 0x78
	v_and_b32_e32 v3, 0x7fffff, v1
	v_sub_u32_e64 v11, s0, v9 clamp
	v_mov_b32_e32 v13, 0x77
	v_cmp_eq_u32_e32 vcc, 0, v9
	v_or_b32_e32 v12, 0x800000, v3
	v_add_u32_e32 v29, 0xffffff89, v9
	v_cndmask_b32_e32 v9, v11, v13, vcc
	v_cndmask_b32_e32 v14, v12, v3, vcc
	v_add_u32_e32 v3, 20, v9
	v_lshlrev_b64 v[12:13], v3, -1
	v_not_b32_e32 v3, v12
	v_mov_b32_e32 v15, 0
	v_and_b32_e32 v12, v14, v3
	v_add_u32_e32 v3, 19, v9
	v_mov_b32_e32 v13, v15
	v_lshlrev_b64 v[30:31], v3, 1
	v_cmp_eq_u64_e64 s[0:1], v[12:13], v[30:31]
	v_lshrrev_b64 v[12:13], v9, v[14:15]
	v_mov_b32_e32 v3, 0xffffff8a
	v_and_b32_e32 v14, 0x100000, v12
	v_cndmask_b32_e32 v3, v29, v3, vcc
	v_cmp_eq_u64_e32 vcc, 0, v[14:15]
	v_lshrrev_b32_e32 v11, 23, v12
	s_and_b64 vcc, vcc, s[0:1]
	v_add3_u32 v9, v3, v9, v11
	v_subbrev_co_u32_e32 v3, vcc, 0, v12, vcc
	v_and_b32_e32 v3, 0xfffff, v3
	v_add_co_u32_e32 v12, vcc, v3, v12
	v_add_u32_e32 v11, -1, v9
	v_addc_co_u32_e32 v13, vcc, 0, v13, vcc
	v_cmp_ne_u32_e32 vcc, 0, v11
                                        ; implicit-def: $vgpr3
	s_and_saveexec_b64 s[0:1], vcc
	s_xor_b64 s[0:1], exec, s[0:1]
; %bb.134:
	v_and_b32_e32 v14, 0x1000000, v12
	v_cmp_eq_u64_e32 vcc, 0, v[14:15]
	v_cndmask_b32_e32 v3, v9, v11, vcc
	v_bfe_u32 v9, v12, 24, 1
	v_lshrrev_b64 v[12:13], v9, v[12:13]
; %bb.135:
	s_andn2_saveexec_b64 s[0:1], s[0:1]
; %bb.136:
	v_bfe_u32 v3, v12, 23, 1
; %bb.137:
	s_or_b64 exec, exec, s[0:1]
	s_movk_i32 s0, 0x80
	v_lshrrev_b64 v[12:13], 20, v[12:13]
	v_cmp_gt_i32_e32 vcc, 16, v3
	v_and_b32_sdwa v1, v1, s0 dst_sel:DWORD dst_unused:UNUSED_PAD src0_sel:BYTE_3 src1_sel:DWORD
	v_min_i32_e32 v9, 15, v3
	v_cndmask_b32_e32 v13, 0, v13, vcc
	v_cndmask_b32_e32 v12, 7, v12, vcc
	v_cmp_eq_u32_e32 vcc, 0, v3
	v_cmp_eq_u64_e64 s[0:1], 0, v[12:13]
	v_lshl_or_b32 v1, v9, 3, v1
	v_and_or_b32 v1, v12, 7, v1
	s_and_b64 s[0:1], vcc, s[0:1]
	v_cndmask_b32_e64 v12, v1, 0, s[0:1]
.LBB4_138:
	s_or_b64 exec, exec, s[12:13]
.LBB4_139:
	s_andn2_saveexec_b64 s[0:1], s[8:9]
	s_or_b64 exec, exec, s[0:1]
.LBB4_140:
	s_andn2_saveexec_b64 s[0:1], s[6:7]
	s_or_b64 exec, exec, s[0:1]
	v_mul_f32_e32 v1, v20, v17
	v_fmac_f32_e32 v1, v21, v16
	v_mul_f32_e32 v1, v24, v1
	v_min_f32_e32 v1, 0x43600000, v1
	v_max_f32_e32 v1, 0xc3600000, v1
	s_movk_i32 s0, 0x7f
	v_mov_b32_e32 v17, 0
	v_or_b32_sdwa v14, v1, s0 dst_sel:DWORD dst_unused:UNUSED_PAD src0_sel:BYTE_3 src1_sel:DWORD
	v_and_b32_e32 v16, 0x7f800000, v1
	s_mov_b64 s[0:1], 0x7f800000
	v_cmp_ne_u64_e32 vcc, s[0:1], v[16:17]
	s_and_saveexec_b64 s[0:1], vcc
	s_xor_b64 s[6:7], exec, s[0:1]
	s_cbranch_execz .LBB4_150
; %bb.141:
	v_and_b32_e32 v16, 0x7fffffff, v1
	s_mov_b64 s[0:1], 0x43700001
	v_cmp_gt_u64_e32 vcc, s[0:1], v[16:17]
	s_and_saveexec_b64 s[0:1], vcc
	s_xor_b64 s[8:9], exec, s[0:1]
	s_cbranch_execz .LBB4_149
; %bb.142:
	v_cmp_ne_u32_e32 vcc, 0, v1
	v_pk_mov_b32 v[14:15], 0, 0
	s_and_saveexec_b64 s[12:13], vcc
	s_cbranch_execz .LBB4_148
; %bb.143:
	v_bfe_u32 v9, v1, 23, 8
	s_movk_i32 s0, 0x78
	v_and_b32_e32 v3, 0x7fffff, v1
	v_sub_u32_e64 v11, s0, v9 clamp
	v_mov_b32_e32 v14, 0x77
	v_cmp_eq_u32_e32 vcc, 0, v9
	v_or_b32_e32 v13, 0x800000, v3
	v_add_u32_e32 v29, 0xffffff89, v9
	v_cndmask_b32_e32 v9, v11, v14, vcc
	v_cndmask_b32_e32 v16, v13, v3, vcc
	v_add_u32_e32 v3, 20, v9
	v_lshlrev_b64 v[14:15], v3, -1
	v_not_b32_e32 v3, v14
	v_mov_b32_e32 v17, 0
	v_and_b32_e32 v14, v16, v3
	v_add_u32_e32 v3, 19, v9
	v_mov_b32_e32 v15, v17
	v_lshlrev_b64 v[30:31], v3, 1
	v_cmp_eq_u64_e64 s[0:1], v[14:15], v[30:31]
	v_lshrrev_b64 v[14:15], v9, v[16:17]
	v_mov_b32_e32 v3, 0xffffff8a
	v_and_b32_e32 v16, 0x100000, v14
	v_cndmask_b32_e32 v3, v29, v3, vcc
	v_cmp_eq_u64_e32 vcc, 0, v[16:17]
	v_lshrrev_b32_e32 v11, 23, v14
	s_and_b64 vcc, vcc, s[0:1]
	v_add3_u32 v9, v3, v9, v11
	v_subbrev_co_u32_e32 v3, vcc, 0, v14, vcc
	v_and_b32_e32 v3, 0xfffff, v3
	v_add_co_u32_e32 v14, vcc, v3, v14
	v_add_u32_e32 v11, -1, v9
	v_addc_co_u32_e32 v15, vcc, 0, v15, vcc
	v_cmp_ne_u32_e32 vcc, 0, v11
                                        ; implicit-def: $vgpr3
	s_and_saveexec_b64 s[0:1], vcc
	s_xor_b64 s[0:1], exec, s[0:1]
; %bb.144:
	v_and_b32_e32 v16, 0x1000000, v14
	v_cmp_eq_u64_e32 vcc, 0, v[16:17]
	v_cndmask_b32_e32 v3, v9, v11, vcc
	v_bfe_u32 v9, v14, 24, 1
	v_lshrrev_b64 v[14:15], v9, v[14:15]
; %bb.145:
	s_andn2_saveexec_b64 s[0:1], s[0:1]
; %bb.146:
	v_bfe_u32 v3, v14, 23, 1
; %bb.147:
	s_or_b64 exec, exec, s[0:1]
	s_movk_i32 s0, 0x80
	v_lshrrev_b64 v[14:15], 20, v[14:15]
	v_cmp_gt_i32_e32 vcc, 16, v3
	v_and_b32_sdwa v1, v1, s0 dst_sel:DWORD dst_unused:UNUSED_PAD src0_sel:BYTE_3 src1_sel:DWORD
	v_min_i32_e32 v9, 15, v3
	v_cndmask_b32_e32 v15, 0, v15, vcc
	v_cndmask_b32_e32 v14, 7, v14, vcc
	v_cmp_eq_u32_e32 vcc, 0, v3
	v_cmp_eq_u64_e64 s[0:1], 0, v[14:15]
	v_lshl_or_b32 v1, v9, 3, v1
	v_and_or_b32 v1, v14, 7, v1
	s_and_b64 s[0:1], vcc, s[0:1]
	v_cndmask_b32_e64 v14, v1, 0, s[0:1]
.LBB4_148:
	s_or_b64 exec, exec, s[12:13]
.LBB4_149:
	s_andn2_saveexec_b64 s[0:1], s[8:9]
	s_or_b64 exec, exec, s[0:1]
.LBB4_150:
	s_andn2_saveexec_b64 s[0:1], s[6:7]
	s_or_b64 exec, exec, s[0:1]
	v_mul_f32_e32 v1, v20, v19
	v_fmac_f32_e32 v1, v21, v18
	v_mul_f32_e32 v1, v24, v1
	v_min_f32_e32 v1, 0x43600000, v1
	v_max_f32_e32 v1, 0xc3600000, v1
	s_movk_i32 s0, 0x7f
	v_mov_b32_e32 v19, 0
	v_or_b32_sdwa v16, v1, s0 dst_sel:DWORD dst_unused:UNUSED_PAD src0_sel:BYTE_3 src1_sel:DWORD
	v_and_b32_e32 v18, 0x7f800000, v1
	s_mov_b64 s[0:1], 0x7f800000
	v_cmp_ne_u64_e32 vcc, s[0:1], v[18:19]
	s_and_saveexec_b64 s[0:1], vcc
	s_xor_b64 s[6:7], exec, s[0:1]
	s_cbranch_execz .LBB4_160
; %bb.151:
	v_and_b32_e32 v18, 0x7fffffff, v1
	s_mov_b64 s[0:1], 0x43700001
	v_cmp_gt_u64_e32 vcc, s[0:1], v[18:19]
	s_and_saveexec_b64 s[0:1], vcc
	s_xor_b64 s[8:9], exec, s[0:1]
	s_cbranch_execz .LBB4_159
; %bb.152:
	v_cmp_ne_u32_e32 vcc, 0, v1
	v_pk_mov_b32 v[16:17], 0, 0
	s_and_saveexec_b64 s[12:13], vcc
	s_cbranch_execz .LBB4_158
; %bb.153:
	v_bfe_u32 v9, v1, 23, 8
	s_movk_i32 s0, 0x78
	v_and_b32_e32 v3, 0x7fffff, v1
	v_sub_u32_e64 v11, s0, v9 clamp
	v_mov_b32_e32 v16, 0x77
	v_cmp_eq_u32_e32 vcc, 0, v9
	v_or_b32_e32 v13, 0x800000, v3
	v_add_u32_e32 v15, 0xffffff89, v9
	v_cndmask_b32_e32 v9, v11, v16, vcc
	v_cndmask_b32_e32 v18, v13, v3, vcc
	v_add_u32_e32 v3, 20, v9
	v_lshlrev_b64 v[16:17], v3, -1
	v_not_b32_e32 v3, v16
	v_mov_b32_e32 v19, 0
	v_and_b32_e32 v16, v18, v3
	v_add_u32_e32 v3, 19, v9
	v_mov_b32_e32 v17, v19
	v_lshlrev_b64 v[30:31], v3, 1
	v_cmp_eq_u64_e64 s[0:1], v[16:17], v[30:31]
	v_lshrrev_b64 v[16:17], v9, v[18:19]
	v_mov_b32_e32 v3, 0xffffff8a
	v_and_b32_e32 v18, 0x100000, v16
	v_cndmask_b32_e32 v3, v15, v3, vcc
	v_cmp_eq_u64_e32 vcc, 0, v[18:19]
	v_lshrrev_b32_e32 v11, 23, v16
	s_and_b64 vcc, vcc, s[0:1]
	v_add3_u32 v9, v3, v9, v11
	v_subbrev_co_u32_e32 v3, vcc, 0, v16, vcc
	v_and_b32_e32 v3, 0xfffff, v3
	v_add_co_u32_e32 v16, vcc, v3, v16
	v_add_u32_e32 v11, -1, v9
	v_addc_co_u32_e32 v17, vcc, 0, v17, vcc
	v_cmp_ne_u32_e32 vcc, 0, v11
                                        ; implicit-def: $vgpr3
	s_and_saveexec_b64 s[0:1], vcc
	s_xor_b64 s[0:1], exec, s[0:1]
; %bb.154:
	v_and_b32_e32 v18, 0x1000000, v16
	v_cmp_eq_u64_e32 vcc, 0, v[18:19]
	v_cndmask_b32_e32 v3, v9, v11, vcc
	v_bfe_u32 v9, v16, 24, 1
	v_lshrrev_b64 v[16:17], v9, v[16:17]
; %bb.155:
	s_andn2_saveexec_b64 s[0:1], s[0:1]
; %bb.156:
	v_bfe_u32 v3, v16, 23, 1
; %bb.157:
	s_or_b64 exec, exec, s[0:1]
	s_movk_i32 s0, 0x80
	v_lshrrev_b64 v[16:17], 20, v[16:17]
	v_cmp_gt_i32_e32 vcc, 16, v3
	v_and_b32_sdwa v1, v1, s0 dst_sel:DWORD dst_unused:UNUSED_PAD src0_sel:BYTE_3 src1_sel:DWORD
	v_min_i32_e32 v9, 15, v3
	v_cndmask_b32_e32 v17, 0, v17, vcc
	v_cndmask_b32_e32 v16, 7, v16, vcc
	v_cmp_eq_u32_e32 vcc, 0, v3
	v_cmp_eq_u64_e64 s[0:1], 0, v[16:17]
	v_lshl_or_b32 v1, v9, 3, v1
	v_and_or_b32 v1, v16, 7, v1
	s_and_b64 s[0:1], vcc, s[0:1]
	v_cndmask_b32_e64 v16, v1, 0, s[0:1]
.LBB4_158:
	s_or_b64 exec, exec, s[12:13]
.LBB4_159:
	s_andn2_saveexec_b64 s[0:1], s[8:9]
	s_or_b64 exec, exec, s[0:1]
.LBB4_160:
	s_andn2_saveexec_b64 s[0:1], s[6:7]
	s_or_b64 exec, exec, s[0:1]
	v_mul_f32_e32 v1, v20, v28
	v_fmac_f32_e32 v1, v21, v27
	v_mul_f32_e32 v1, v24, v1
	v_min_f32_e32 v1, 0x43600000, v1
	v_max_f32_e32 v1, 0xc3600000, v1
	s_movk_i32 s0, 0x7f
	v_mov_b32_e32 v21, 0
	v_or_b32_sdwa v18, v1, s0 dst_sel:DWORD dst_unused:UNUSED_PAD src0_sel:BYTE_3 src1_sel:DWORD
	v_and_b32_e32 v20, 0x7f800000, v1
	s_mov_b64 s[0:1], 0x7f800000
	v_cmp_ne_u64_e32 vcc, s[0:1], v[20:21]
	s_and_saveexec_b64 s[0:1], vcc
	s_xor_b64 s[6:7], exec, s[0:1]
	s_cbranch_execz .LBB4_170
; %bb.161:
	v_and_b32_e32 v20, 0x7fffffff, v1
	s_mov_b64 s[0:1], 0x43700001
	v_cmp_gt_u64_e32 vcc, s[0:1], v[20:21]
	s_and_saveexec_b64 s[0:1], vcc
	s_xor_b64 s[8:9], exec, s[0:1]
	s_cbranch_execz .LBB4_169
; %bb.162:
	v_cmp_ne_u32_e32 vcc, 0, v1
	v_pk_mov_b32 v[18:19], 0, 0
	s_and_saveexec_b64 s[12:13], vcc
	s_cbranch_execz .LBB4_168
; %bb.163:
	v_bfe_u32 v9, v1, 23, 8
	s_movk_i32 s0, 0x78
	v_and_b32_e32 v3, 0x7fffff, v1
	v_sub_u32_e64 v11, s0, v9 clamp
	v_mov_b32_e32 v17, 0x77
	v_cmp_eq_u32_e32 vcc, 0, v9
	v_or_b32_e32 v13, 0x800000, v3
	v_add_u32_e32 v15, 0xffffff89, v9
	v_cndmask_b32_e32 v9, v11, v17, vcc
	v_cndmask_b32_e32 v20, v13, v3, vcc
	v_add_u32_e32 v3, 20, v9
	v_lshlrev_b64 v[18:19], v3, -1
	v_not_b32_e32 v3, v18
	v_mov_b32_e32 v21, 0
	v_and_b32_e32 v18, v20, v3
	v_add_u32_e32 v3, 19, v9
	v_mov_b32_e32 v19, v21
	v_lshlrev_b64 v[28:29], v3, 1
	v_cmp_eq_u64_e64 s[0:1], v[18:19], v[28:29]
	v_lshrrev_b64 v[18:19], v9, v[20:21]
	v_mov_b32_e32 v3, 0xffffff8a
	v_and_b32_e32 v20, 0x100000, v18
	v_cndmask_b32_e32 v3, v15, v3, vcc
	v_cmp_eq_u64_e32 vcc, 0, v[20:21]
	v_lshrrev_b32_e32 v11, 23, v18
	s_and_b64 vcc, vcc, s[0:1]
	v_add3_u32 v9, v3, v9, v11
	v_subbrev_co_u32_e32 v3, vcc, 0, v18, vcc
	v_and_b32_e32 v3, 0xfffff, v3
	v_add_co_u32_e32 v18, vcc, v3, v18
	v_add_u32_e32 v11, -1, v9
	v_addc_co_u32_e32 v19, vcc, 0, v19, vcc
	v_cmp_ne_u32_e32 vcc, 0, v11
                                        ; implicit-def: $vgpr3
	s_and_saveexec_b64 s[0:1], vcc
	s_xor_b64 s[0:1], exec, s[0:1]
; %bb.164:
	v_and_b32_e32 v20, 0x1000000, v18
	v_cmp_eq_u64_e32 vcc, 0, v[20:21]
	v_cndmask_b32_e32 v3, v9, v11, vcc
	v_bfe_u32 v9, v18, 24, 1
	v_lshrrev_b64 v[18:19], v9, v[18:19]
; %bb.165:
	s_andn2_saveexec_b64 s[0:1], s[0:1]
; %bb.166:
	v_bfe_u32 v3, v18, 23, 1
; %bb.167:
	s_or_b64 exec, exec, s[0:1]
	s_movk_i32 s0, 0x80
	v_lshrrev_b64 v[18:19], 20, v[18:19]
	v_cmp_gt_i32_e32 vcc, 16, v3
	v_and_b32_sdwa v1, v1, s0 dst_sel:DWORD dst_unused:UNUSED_PAD src0_sel:BYTE_3 src1_sel:DWORD
	v_min_i32_e32 v9, 15, v3
	v_cndmask_b32_e32 v19, 0, v19, vcc
	v_cndmask_b32_e32 v18, 7, v18, vcc
	v_cmp_eq_u32_e32 vcc, 0, v3
	v_cmp_eq_u64_e64 s[0:1], 0, v[18:19]
	v_lshl_or_b32 v1, v9, 3, v1
	v_and_or_b32 v1, v18, 7, v1
	s_and_b64 s[0:1], vcc, s[0:1]
	v_cndmask_b32_e64 v18, v1, 0, s[0:1]
.LBB4_168:
	s_or_b64 exec, exec, s[12:13]
.LBB4_169:
	s_andn2_saveexec_b64 s[0:1], s[8:9]
	s_or_b64 exec, exec, s[0:1]
.LBB4_170:
	s_andn2_saveexec_b64 s[0:1], s[6:7]
	s_or_b64 exec, exec, s[0:1]
	v_lshlrev_b32_e32 v3, 16, v16
	v_lshlrev_b32_e32 v1, 24, v18
	v_and_b32_e32 v3, 0xff0000, v3
	v_or_b32_e32 v1, v1, v3
	v_lshlrev_b32_e32 v3, 8, v14
	v_lshlrev_b64 v[20:21], 3, v[4:5]
	v_and_b32_e32 v3, 0xff00, v3
	v_and_b32_e32 v5, 0xff, v12
	v_or3_b32 v1, v1, v3, v5
	v_lshlrev_b32_e32 v3, 16, v8
	s_mov_b32 s1, 0x4020c0c
	s_mov_b32 s0, 0xff00
	v_lshlrev_b32_e32 v2, 8, v2
	v_perm_b32 v3, v10, v3, s1
	v_add_co_u32_e32 v20, vcc, v22, v20
	v_and_or_b32 v2, v2, s0, v3
	v_addc_co_u32_e32 v21, vcc, v23, v21, vcc
	v_or_b32_sdwa v0, v2, v0 dst_sel:DWORD dst_unused:UNUSED_PAD src0_sel:DWORD src1_sel:BYTE_0
	global_store_dwordx2 v[20:21], v[0:1], off
.LBB4_171:
	s_or_b64 exec, exec, s[4:5]
	s_cmp_lg_u64 s[10:11], 0
	s_cselect_b64 s[0:1], -1, 0
	v_cmp_eq_u32_e32 vcc, 0, v4
	s_and_b64 s[0:1], s[0:1], vcc
	s_and_saveexec_b64 s[4:5], s[0:1]
	s_cbranch_execz .LBB4_173
; %bb.172:
	s_mov_b32 s0, 0x800000
	v_mov_b32_e32 v0, 0x4f800000
	v_cmp_gt_f32_e32 vcc, s0, v26
	v_cndmask_b32_e32 v0, 1.0, v0, vcc
	v_mul_f32_e32 v0, v26, v0
	v_log_f32_e32 v2, v0
	v_mov_b32_e32 v1, s11
	v_add_co_u32_e64 v0, s[0:1], s10, v6
	v_addc_co_u32_e64 v1, s[0:1], v1, v7, s[0:1]
	s_mov_b32 s0, 0x3f317217
	v_mul_f32_e32 v3, 0x3f317217, v2
	v_fma_f32 v4, v2, s0, -v3
	v_fmac_f32_e32 v4, 0x3377d1cf, v2
	s_mov_b32 s0, 0x7f800000
	v_add_f32_e32 v3, v3, v4
	v_cmp_lt_f32_e64 s[0:1], |v2|, s0
	v_cndmask_b32_e64 v2, v2, v3, s[0:1]
	v_mov_b32_e32 v3, 0x41b17218
	v_cndmask_b32_e32 v3, 0, v3, vcc
	v_sub_f32_e32 v2, v2, v3
	v_add_f32_e32 v2, v25, v2
	global_store_dword v[0:1], v2, off
.LBB4_173:
	s_or_b64 exec, exec, s[4:5]
                                        ; implicit-def: $vgpr25
                                        ; implicit-def: $vgpr6_vgpr7
                                        ; implicit-def: $vgpr0
                                        ; implicit-def: $vgpr1
                                        ; implicit-def: $vgpr4
                                        ; implicit-def: $vgpr5
                                        ; implicit-def: $vgpr24
                                        ; implicit-def: $vgpr22
                                        ; implicit-def: $vgpr23
.LBB4_174:
	s_andn2_saveexec_b64 s[0:1], s[2:3]
	s_cbranch_execz .LBB4_259
; %bb.175:
	v_cmp_gt_u32_e32 vcc, s18, v5
	s_and_saveexec_b64 s[2:3], vcc
	s_cbranch_execz .LBB4_257
; %bb.176:
	v_mov_b32_e32 v5, 0
	v_lshlrev_b64 v[2:3], 4, v[4:5]
	v_add_co_u32_e32 v0, vcc, v0, v2
	v_addc_co_u32_e32 v1, vcc, v1, v3, vcc
	global_load_dwordx4 v[0:3], v[0:1], off
	s_movk_i32 s0, 0x7f
	v_mov_b32_e32 v11, v5
	s_waitcnt vmcnt(0)
	v_and_b32_e32 v8, 0xffff, v0
	;;#ASMSTART
	v_cvt_f32_f16 v8, v8;
	;;#ASMEND
	v_mul_f32_e32 v8, v24, v8
	v_min_f32_e32 v8, 0x43600000, v8
	v_max_f32_e32 v12, 0xc3600000, v8
	v_or_b32_sdwa v8, v12, s0 dst_sel:DWORD dst_unused:UNUSED_PAD src0_sel:BYTE_3 src1_sel:DWORD
	v_and_b32_e32 v10, 0x7f800000, v12
	s_mov_b64 s[0:1], 0x7f800000
	v_cmp_ne_u64_e32 vcc, s[0:1], v[10:11]
	s_and_saveexec_b64 s[0:1], vcc
	s_xor_b64 s[4:5], exec, s[0:1]
	s_cbranch_execz .LBB4_186
; %bb.177:
	v_and_b32_e32 v10, 0x7fffffff, v12
	v_mov_b32_e32 v11, v5
	s_mov_b64 s[0:1], 0x43700001
	v_cmp_gt_u64_e32 vcc, s[0:1], v[10:11]
	s_and_saveexec_b64 s[0:1], vcc
	s_xor_b64 s[6:7], exec, s[0:1]
	s_cbranch_execz .LBB4_185
; %bb.178:
	v_cmp_ne_u32_e32 vcc, 0, v12
	v_pk_mov_b32 v[8:9], 0, 0
	s_and_saveexec_b64 s[8:9], vcc
	s_cbranch_execz .LBB4_184
; %bb.179:
	v_bfe_u32 v9, v12, 23, 8
	s_movk_i32 s0, 0x78
	v_and_b32_e32 v8, 0x7fffff, v12
	v_sub_u32_e64 v10, s0, v9 clamp
	v_mov_b32_e32 v14, 0x77
	v_cmp_eq_u32_e32 vcc, 0, v9
	v_or_b32_e32 v11, 0x800000, v8
	v_cndmask_b32_e32 v16, v10, v14, vcc
	v_cndmask_b32_e32 v10, v11, v8, vcc
	v_add_u32_e32 v8, 20, v16
	v_add_u32_e32 v13, 0xffffff89, v9
	v_lshlrev_b64 v[8:9], v8, -1
	v_mov_b32_e32 v11, 0
	v_not_b32_e32 v8, v8
	v_add_u32_e32 v14, 19, v16
	v_and_b32_e32 v8, v10, v8
	v_mov_b32_e32 v9, v11
	v_lshlrev_b64 v[14:15], v14, 1
	v_cmp_eq_u64_e64 s[0:1], v[8:9], v[14:15]
	v_lshrrev_b64 v[8:9], v16, v[10:11]
	v_mov_b32_e32 v10, 0xffffff8a
	v_cndmask_b32_e32 v10, v13, v10, vcc
	v_lshrrev_b32_e32 v13, 23, v8
	v_add3_u32 v13, v10, v16, v13
	v_and_b32_e32 v10, 0x100000, v8
	v_cmp_eq_u64_e32 vcc, 0, v[10:11]
	s_and_b64 vcc, vcc, s[0:1]
	v_subbrev_co_u32_e32 v10, vcc, 0, v8, vcc
	v_and_b32_e32 v10, 0xfffff, v10
	v_add_co_u32_e32 v8, vcc, v10, v8
	v_add_u32_e32 v14, -1, v13
	v_addc_co_u32_e32 v9, vcc, 0, v9, vcc
	v_cmp_ne_u32_e32 vcc, 0, v14
                                        ; implicit-def: $vgpr10
	s_and_saveexec_b64 s[0:1], vcc
	s_xor_b64 s[0:1], exec, s[0:1]
; %bb.180:
	v_and_b32_e32 v10, 0x1000000, v8
	v_cmp_eq_u64_e32 vcc, 0, v[10:11]
	v_bfe_u32 v11, v8, 24, 1
	v_cndmask_b32_e32 v10, v13, v14, vcc
	v_lshrrev_b64 v[8:9], v11, v[8:9]
; %bb.181:
	s_andn2_saveexec_b64 s[0:1], s[0:1]
; %bb.182:
	v_bfe_u32 v10, v8, 23, 1
; %bb.183:
	s_or_b64 exec, exec, s[0:1]
	s_movk_i32 s0, 0x80
	v_lshrrev_b64 v[8:9], 20, v[8:9]
	v_cmp_gt_i32_e32 vcc, 16, v10
	v_and_b32_sdwa v11, v12, s0 dst_sel:DWORD dst_unused:UNUSED_PAD src0_sel:BYTE_3 src1_sel:DWORD
	v_min_i32_e32 v12, 15, v10
	v_cndmask_b32_e32 v9, 0, v9, vcc
	v_cndmask_b32_e32 v8, 7, v8, vcc
	v_cmp_eq_u32_e32 vcc, 0, v10
	v_cmp_eq_u64_e64 s[0:1], 0, v[8:9]
	v_lshl_or_b32 v9, v12, 3, v11
	v_and_or_b32 v8, v8, 7, v9
	s_and_b64 s[0:1], vcc, s[0:1]
	v_cndmask_b32_e64 v8, v8, 0, s[0:1]
.LBB4_184:
	s_or_b64 exec, exec, s[8:9]
.LBB4_185:
	s_andn2_saveexec_b64 s[0:1], s[6:7]
	s_or_b64 exec, exec, s[0:1]
.LBB4_186:
	s_andn2_saveexec_b64 s[0:1], s[4:5]
	s_or_b64 exec, exec, s[0:1]
	v_lshrrev_b32_e32 v0, 16, v0
	;;#ASMSTART
	v_cvt_f32_f16 v0, v0;
	;;#ASMEND
	v_mul_f32_e32 v0, v24, v0
	v_min_f32_e32 v0, 0x43600000, v0
	v_max_f32_e32 v0, 0xc3600000, v0
	s_movk_i32 s0, 0x7f
	v_mov_b32_e32 v13, 0
	v_or_b32_sdwa v10, v0, s0 dst_sel:DWORD dst_unused:UNUSED_PAD src0_sel:BYTE_3 src1_sel:DWORD
	v_and_b32_e32 v12, 0x7f800000, v0
	s_mov_b64 s[0:1], 0x7f800000
	v_cmp_ne_u64_e32 vcc, s[0:1], v[12:13]
	s_and_saveexec_b64 s[0:1], vcc
	s_xor_b64 s[4:5], exec, s[0:1]
	s_cbranch_execz .LBB4_196
; %bb.187:
	v_and_b32_e32 v12, 0x7fffffff, v0
	s_mov_b64 s[0:1], 0x43700001
	v_cmp_gt_u64_e32 vcc, s[0:1], v[12:13]
	s_and_saveexec_b64 s[0:1], vcc
	s_xor_b64 s[6:7], exec, s[0:1]
	s_cbranch_execz .LBB4_195
; %bb.188:
	v_cmp_ne_u32_e32 vcc, 0, v0
	v_pk_mov_b32 v[10:11], 0, 0
	s_and_saveexec_b64 s[8:9], vcc
	s_cbranch_execz .LBB4_194
; %bb.189:
	v_bfe_u32 v10, v0, 23, 8
	s_movk_i32 s0, 0x78
	v_and_b32_e32 v9, 0x7fffff, v0
	v_sub_u32_e64 v11, s0, v10 clamp
	v_mov_b32_e32 v13, 0x77
	v_cmp_eq_u32_e32 vcc, 0, v10
	v_or_b32_e32 v12, 0x800000, v9
	v_cndmask_b32_e32 v17, v11, v13, vcc
	v_cndmask_b32_e32 v12, v12, v9, vcc
	v_add_u32_e32 v9, 20, v17
	v_add_u32_e32 v16, 0xffffff89, v10
	v_lshlrev_b64 v[10:11], v9, -1
	v_not_b32_e32 v9, v10
	v_mov_b32_e32 v13, 0
	v_and_b32_e32 v10, v12, v9
	v_add_u32_e32 v9, 19, v17
	v_mov_b32_e32 v11, v13
	v_lshlrev_b64 v[14:15], v9, 1
	v_cmp_eq_u64_e64 s[0:1], v[10:11], v[14:15]
	v_lshrrev_b64 v[10:11], v17, v[12:13]
	v_mov_b32_e32 v9, 0xffffff8a
	v_cndmask_b32_e32 v9, v16, v9, vcc
	v_lshrrev_b32_e32 v12, 23, v10
	v_add3_u32 v14, v9, v17, v12
	v_and_b32_e32 v12, 0x100000, v10
	v_cmp_eq_u64_e32 vcc, 0, v[12:13]
	s_and_b64 vcc, vcc, s[0:1]
	v_subbrev_co_u32_e32 v9, vcc, 0, v10, vcc
	v_and_b32_e32 v9, 0xfffff, v9
	v_add_co_u32_e32 v10, vcc, v9, v10
	v_add_u32_e32 v15, -1, v14
	v_addc_co_u32_e32 v11, vcc, 0, v11, vcc
	v_cmp_ne_u32_e32 vcc, 0, v15
                                        ; implicit-def: $vgpr9
	s_and_saveexec_b64 s[0:1], vcc
	s_xor_b64 s[0:1], exec, s[0:1]
; %bb.190:
	v_and_b32_e32 v12, 0x1000000, v10
	v_cmp_eq_u64_e32 vcc, 0, v[12:13]
	v_bfe_u32 v12, v10, 24, 1
	v_cndmask_b32_e32 v9, v14, v15, vcc
	v_lshrrev_b64 v[10:11], v12, v[10:11]
; %bb.191:
	s_andn2_saveexec_b64 s[0:1], s[0:1]
; %bb.192:
	v_bfe_u32 v9, v10, 23, 1
; %bb.193:
	s_or_b64 exec, exec, s[0:1]
	s_movk_i32 s0, 0x80
	v_lshrrev_b64 v[10:11], 20, v[10:11]
	v_cmp_gt_i32_e32 vcc, 16, v9
	v_and_b32_sdwa v0, v0, s0 dst_sel:DWORD dst_unused:UNUSED_PAD src0_sel:BYTE_3 src1_sel:DWORD
	v_min_i32_e32 v12, 15, v9
	v_cndmask_b32_e32 v11, 0, v11, vcc
	v_cndmask_b32_e32 v10, 7, v10, vcc
	v_cmp_eq_u32_e32 vcc, 0, v9
	v_cmp_eq_u64_e64 s[0:1], 0, v[10:11]
	v_lshl_or_b32 v0, v12, 3, v0
	v_and_or_b32 v0, v10, 7, v0
	s_and_b64 s[0:1], vcc, s[0:1]
	v_cndmask_b32_e64 v10, v0, 0, s[0:1]
.LBB4_194:
	s_or_b64 exec, exec, s[8:9]
.LBB4_195:
	s_andn2_saveexec_b64 s[0:1], s[6:7]
	s_or_b64 exec, exec, s[0:1]
.LBB4_196:
	s_andn2_saveexec_b64 s[0:1], s[4:5]
	s_or_b64 exec, exec, s[0:1]
	v_and_b32_e32 v0, 0xffff, v1
	;;#ASMSTART
	v_cvt_f32_f16 v0, v0;
	;;#ASMEND
	v_mul_f32_e32 v0, v24, v0
	v_min_f32_e32 v0, 0x43600000, v0
	v_max_f32_e32 v0, 0xc3600000, v0
	s_movk_i32 s0, 0x7f
	v_mov_b32_e32 v15, 0
	v_or_b32_sdwa v12, v0, s0 dst_sel:DWORD dst_unused:UNUSED_PAD src0_sel:BYTE_3 src1_sel:DWORD
	v_and_b32_e32 v14, 0x7f800000, v0
	s_mov_b64 s[0:1], 0x7f800000
	v_cmp_ne_u64_e32 vcc, s[0:1], v[14:15]
	s_and_saveexec_b64 s[0:1], vcc
	s_xor_b64 s[4:5], exec, s[0:1]
	s_cbranch_execz .LBB4_206
; %bb.197:
	v_and_b32_e32 v14, 0x7fffffff, v0
	s_mov_b64 s[0:1], 0x43700001
	v_cmp_gt_u64_e32 vcc, s[0:1], v[14:15]
	s_and_saveexec_b64 s[0:1], vcc
	s_xor_b64 s[6:7], exec, s[0:1]
	s_cbranch_execz .LBB4_205
; %bb.198:
	v_cmp_ne_u32_e32 vcc, 0, v0
	v_pk_mov_b32 v[12:13], 0, 0
	s_and_saveexec_b64 s[8:9], vcc
	s_cbranch_execz .LBB4_204
; %bb.199:
	v_bfe_u32 v11, v0, 23, 8
	s_movk_i32 s0, 0x78
	v_and_b32_e32 v9, 0x7fffff, v0
	v_sub_u32_e64 v12, s0, v11 clamp
	v_mov_b32_e32 v14, 0x77
	v_cmp_eq_u32_e32 vcc, 0, v11
	v_or_b32_e32 v13, 0x800000, v9
	v_add_u32_e32 v18, 0xffffff89, v11
	v_cndmask_b32_e32 v11, v12, v14, vcc
	v_cndmask_b32_e32 v14, v13, v9, vcc
	v_add_u32_e32 v9, 20, v11
	v_lshlrev_b64 v[12:13], v9, -1
	v_not_b32_e32 v9, v12
	v_mov_b32_e32 v15, 0
	v_and_b32_e32 v12, v14, v9
	v_add_u32_e32 v9, 19, v11
	v_mov_b32_e32 v13, v15
	v_lshlrev_b64 v[16:17], v9, 1
	v_cmp_eq_u64_e64 s[0:1], v[12:13], v[16:17]
	v_lshrrev_b64 v[12:13], v11, v[14:15]
	v_mov_b32_e32 v9, 0xffffff8a
	v_cndmask_b32_e32 v9, v18, v9, vcc
	v_lshrrev_b32_e32 v14, 23, v12
	v_add3_u32 v11, v9, v11, v14
	v_and_b32_e32 v14, 0x100000, v12
	v_cmp_eq_u64_e32 vcc, 0, v[14:15]
	s_and_b64 vcc, vcc, s[0:1]
	v_subbrev_co_u32_e32 v9, vcc, 0, v12, vcc
	v_and_b32_e32 v9, 0xfffff, v9
	v_add_co_u32_e32 v12, vcc, v9, v12
	v_add_u32_e32 v16, -1, v11
	v_addc_co_u32_e32 v13, vcc, 0, v13, vcc
	v_cmp_ne_u32_e32 vcc, 0, v16
                                        ; implicit-def: $vgpr9
	s_and_saveexec_b64 s[0:1], vcc
	s_xor_b64 s[0:1], exec, s[0:1]
; %bb.200:
	v_and_b32_e32 v14, 0x1000000, v12
	v_cmp_eq_u64_e32 vcc, 0, v[14:15]
	v_cndmask_b32_e32 v9, v11, v16, vcc
	v_bfe_u32 v11, v12, 24, 1
	v_lshrrev_b64 v[12:13], v11, v[12:13]
; %bb.201:
	s_andn2_saveexec_b64 s[0:1], s[0:1]
; %bb.202:
	v_bfe_u32 v9, v12, 23, 1
; %bb.203:
	s_or_b64 exec, exec, s[0:1]
	s_movk_i32 s0, 0x80
	v_lshrrev_b64 v[12:13], 20, v[12:13]
	v_cmp_gt_i32_e32 vcc, 16, v9
	v_and_b32_sdwa v0, v0, s0 dst_sel:DWORD dst_unused:UNUSED_PAD src0_sel:BYTE_3 src1_sel:DWORD
	v_min_i32_e32 v11, 15, v9
	v_cndmask_b32_e32 v13, 0, v13, vcc
	v_cndmask_b32_e32 v12, 7, v12, vcc
	v_cmp_eq_u32_e32 vcc, 0, v9
	v_cmp_eq_u64_e64 s[0:1], 0, v[12:13]
	v_lshl_or_b32 v0, v11, 3, v0
	v_and_or_b32 v0, v12, 7, v0
	s_and_b64 s[0:1], vcc, s[0:1]
	v_cndmask_b32_e64 v12, v0, 0, s[0:1]
.LBB4_204:
	s_or_b64 exec, exec, s[8:9]
.LBB4_205:
	s_andn2_saveexec_b64 s[0:1], s[6:7]
	s_or_b64 exec, exec, s[0:1]
.LBB4_206:
	s_andn2_saveexec_b64 s[0:1], s[4:5]
	s_or_b64 exec, exec, s[0:1]
	v_lshrrev_b32_e32 v0, 16, v1
	;;#ASMSTART
	v_cvt_f32_f16 v0, v0;
	;;#ASMEND
	v_mul_f32_e32 v0, v24, v0
	v_min_f32_e32 v0, 0x43600000, v0
	v_max_f32_e32 v9, 0xc3600000, v0
	s_movk_i32 s0, 0x7f
	v_mov_b32_e32 v15, 0
	v_or_b32_sdwa v0, v9, s0 dst_sel:DWORD dst_unused:UNUSED_PAD src0_sel:BYTE_3 src1_sel:DWORD
	v_and_b32_e32 v14, 0x7f800000, v9
	s_mov_b64 s[0:1], 0x7f800000
	v_cmp_ne_u64_e32 vcc, s[0:1], v[14:15]
	s_and_saveexec_b64 s[0:1], vcc
	s_xor_b64 s[4:5], exec, s[0:1]
	s_cbranch_execz .LBB4_216
; %bb.207:
	v_and_b32_e32 v14, 0x7fffffff, v9
	s_mov_b64 s[0:1], 0x43700001
	v_cmp_gt_u64_e32 vcc, s[0:1], v[14:15]
	s_and_saveexec_b64 s[0:1], vcc
	s_xor_b64 s[6:7], exec, s[0:1]
	s_cbranch_execz .LBB4_215
; %bb.208:
	v_cmp_ne_u32_e32 vcc, 0, v9
	v_pk_mov_b32 v[0:1], 0, 0
	s_and_saveexec_b64 s[8:9], vcc
	s_cbranch_execz .LBB4_214
; %bb.209:
	v_bfe_u32 v1, v9, 23, 8
	s_movk_i32 s0, 0x78
	v_and_b32_e32 v0, 0x7fffff, v9
	v_sub_u32_e64 v11, s0, v1 clamp
	v_mov_b32_e32 v14, 0x77
	v_cmp_eq_u32_e32 vcc, 0, v1
	v_or_b32_e32 v13, 0x800000, v0
	v_cndmask_b32_e32 v11, v11, v14, vcc
	v_cndmask_b32_e32 v14, v13, v0, vcc
	v_add_u32_e32 v0, 20, v11
	v_add_u32_e32 v18, 0xffffff89, v1
	v_lshlrev_b64 v[0:1], v0, -1
	v_mov_b32_e32 v15, 0
	v_not_b32_e32 v0, v0
	v_add_u32_e32 v13, 19, v11
	v_and_b32_e32 v0, v14, v0
	v_mov_b32_e32 v1, v15
	v_lshlrev_b64 v[16:17], v13, 1
	v_cmp_eq_u64_e64 s[0:1], v[0:1], v[16:17]
	v_lshrrev_b64 v[0:1], v11, v[14:15]
	v_mov_b32_e32 v13, 0xffffff8a
	v_cndmask_b32_e32 v13, v18, v13, vcc
	v_lshrrev_b32_e32 v14, 23, v0
	v_add3_u32 v13, v13, v11, v14
	v_and_b32_e32 v14, 0x100000, v0
	v_cmp_eq_u64_e32 vcc, 0, v[14:15]
	s_and_b64 vcc, vcc, s[0:1]
	v_subbrev_co_u32_e32 v11, vcc, 0, v0, vcc
	v_and_b32_e32 v11, 0xfffff, v11
	v_add_co_u32_e32 v0, vcc, v11, v0
	v_add_u32_e32 v16, -1, v13
	v_addc_co_u32_e32 v1, vcc, 0, v1, vcc
	v_cmp_ne_u32_e32 vcc, 0, v16
                                        ; implicit-def: $vgpr11
	s_and_saveexec_b64 s[0:1], vcc
	s_xor_b64 s[0:1], exec, s[0:1]
; %bb.210:
	v_and_b32_e32 v14, 0x1000000, v0
	v_cmp_eq_u64_e32 vcc, 0, v[14:15]
	v_cndmask_b32_e32 v11, v13, v16, vcc
	v_bfe_u32 v13, v0, 24, 1
	v_lshrrev_b64 v[0:1], v13, v[0:1]
; %bb.211:
	s_andn2_saveexec_b64 s[0:1], s[0:1]
; %bb.212:
	v_bfe_u32 v11, v0, 23, 1
; %bb.213:
	s_or_b64 exec, exec, s[0:1]
	s_movk_i32 s0, 0x80
	v_lshrrev_b64 v[0:1], 20, v[0:1]
	v_cmp_gt_i32_e32 vcc, 16, v11
	v_and_b32_sdwa v9, v9, s0 dst_sel:DWORD dst_unused:UNUSED_PAD src0_sel:BYTE_3 src1_sel:DWORD
	v_min_i32_e32 v13, 15, v11
	v_cndmask_b32_e32 v1, 0, v1, vcc
	v_cndmask_b32_e32 v0, 7, v0, vcc
	v_cmp_eq_u32_e32 vcc, 0, v11
	v_cmp_eq_u64_e64 s[0:1], 0, v[0:1]
	v_lshl_or_b32 v1, v13, 3, v9
	v_and_or_b32 v0, v0, 7, v1
	s_and_b64 s[0:1], vcc, s[0:1]
	v_cndmask_b32_e64 v0, v0, 0, s[0:1]
.LBB4_214:
	s_or_b64 exec, exec, s[8:9]
.LBB4_215:
	s_andn2_saveexec_b64 s[0:1], s[6:7]
	s_or_b64 exec, exec, s[0:1]
.LBB4_216:
	s_andn2_saveexec_b64 s[0:1], s[4:5]
	s_or_b64 exec, exec, s[0:1]
	v_and_b32_e32 v1, 0xffff, v2
	;;#ASMSTART
	v_cvt_f32_f16 v1, v1;
	;;#ASMEND
	v_mul_f32_e32 v1, v24, v1
	v_min_f32_e32 v1, 0x43600000, v1
	v_max_f32_e32 v1, 0xc3600000, v1
	s_movk_i32 s0, 0x7f
	v_mov_b32_e32 v17, 0
	v_or_b32_sdwa v14, v1, s0 dst_sel:DWORD dst_unused:UNUSED_PAD src0_sel:BYTE_3 src1_sel:DWORD
	v_and_b32_e32 v16, 0x7f800000, v1
	s_mov_b64 s[0:1], 0x7f800000
	v_cmp_ne_u64_e32 vcc, s[0:1], v[16:17]
	s_and_saveexec_b64 s[0:1], vcc
	s_xor_b64 s[4:5], exec, s[0:1]
	s_cbranch_execz .LBB4_226
; %bb.217:
	v_and_b32_e32 v16, 0x7fffffff, v1
	s_mov_b64 s[0:1], 0x43700001
	v_cmp_gt_u64_e32 vcc, s[0:1], v[16:17]
	s_and_saveexec_b64 s[0:1], vcc
	s_xor_b64 s[6:7], exec, s[0:1]
	s_cbranch_execz .LBB4_225
; %bb.218:
	v_cmp_ne_u32_e32 vcc, 0, v1
	v_pk_mov_b32 v[14:15], 0, 0
	s_and_saveexec_b64 s[8:9], vcc
	s_cbranch_execz .LBB4_224
; %bb.219:
	v_bfe_u32 v11, v1, 23, 8
	s_movk_i32 s0, 0x78
	v_and_b32_e32 v9, 0x7fffff, v1
	v_sub_u32_e64 v13, s0, v11 clamp
	v_mov_b32_e32 v15, 0x77
	v_cmp_eq_u32_e32 vcc, 0, v11
	v_or_b32_e32 v14, 0x800000, v9
	v_add_u32_e32 v20, 0xffffff89, v11
	v_cndmask_b32_e32 v11, v13, v15, vcc
	v_cndmask_b32_e32 v16, v14, v9, vcc
	v_add_u32_e32 v9, 20, v11
	v_lshlrev_b64 v[14:15], v9, -1
	v_not_b32_e32 v9, v14
	v_mov_b32_e32 v17, 0
	v_and_b32_e32 v14, v16, v9
	v_add_u32_e32 v9, 19, v11
	v_mov_b32_e32 v15, v17
	v_lshlrev_b64 v[18:19], v9, 1
	v_cmp_eq_u64_e64 s[0:1], v[14:15], v[18:19]
	v_lshrrev_b64 v[14:15], v11, v[16:17]
	v_mov_b32_e32 v9, 0xffffff8a
	v_and_b32_e32 v16, 0x100000, v14
	v_cndmask_b32_e32 v9, v20, v9, vcc
	v_cmp_eq_u64_e32 vcc, 0, v[16:17]
	v_lshrrev_b32_e32 v13, 23, v14
	s_and_b64 vcc, vcc, s[0:1]
	v_add3_u32 v11, v9, v11, v13
	v_subbrev_co_u32_e32 v9, vcc, 0, v14, vcc
	v_and_b32_e32 v9, 0xfffff, v9
	v_add_co_u32_e32 v14, vcc, v9, v14
	v_add_u32_e32 v13, -1, v11
	v_addc_co_u32_e32 v15, vcc, 0, v15, vcc
	v_cmp_ne_u32_e32 vcc, 0, v13
                                        ; implicit-def: $vgpr9
	s_and_saveexec_b64 s[0:1], vcc
	s_xor_b64 s[0:1], exec, s[0:1]
; %bb.220:
	v_and_b32_e32 v16, 0x1000000, v14
	v_cmp_eq_u64_e32 vcc, 0, v[16:17]
	v_cndmask_b32_e32 v9, v11, v13, vcc
	v_bfe_u32 v11, v14, 24, 1
	v_lshrrev_b64 v[14:15], v11, v[14:15]
; %bb.221:
	s_andn2_saveexec_b64 s[0:1], s[0:1]
; %bb.222:
	v_bfe_u32 v9, v14, 23, 1
; %bb.223:
	s_or_b64 exec, exec, s[0:1]
	s_movk_i32 s0, 0x80
	v_lshrrev_b64 v[14:15], 20, v[14:15]
	v_cmp_gt_i32_e32 vcc, 16, v9
	v_and_b32_sdwa v1, v1, s0 dst_sel:DWORD dst_unused:UNUSED_PAD src0_sel:BYTE_3 src1_sel:DWORD
	v_min_i32_e32 v11, 15, v9
	v_cndmask_b32_e32 v15, 0, v15, vcc
	v_cndmask_b32_e32 v14, 7, v14, vcc
	v_cmp_eq_u32_e32 vcc, 0, v9
	v_cmp_eq_u64_e64 s[0:1], 0, v[14:15]
	v_lshl_or_b32 v1, v11, 3, v1
	v_and_or_b32 v1, v14, 7, v1
	s_and_b64 s[0:1], vcc, s[0:1]
	v_cndmask_b32_e64 v14, v1, 0, s[0:1]
.LBB4_224:
	s_or_b64 exec, exec, s[8:9]
.LBB4_225:
	s_andn2_saveexec_b64 s[0:1], s[6:7]
	s_or_b64 exec, exec, s[0:1]
.LBB4_226:
	s_andn2_saveexec_b64 s[0:1], s[4:5]
	s_or_b64 exec, exec, s[0:1]
	v_lshrrev_b32_e32 v1, 16, v2
	;;#ASMSTART
	v_cvt_f32_f16 v1, v1;
	;;#ASMEND
	v_mul_f32_e32 v1, v24, v1
	v_min_f32_e32 v1, 0x43600000, v1
	v_max_f32_e32 v1, 0xc3600000, v1
	s_movk_i32 s0, 0x7f
	v_mov_b32_e32 v19, 0
	v_or_b32_sdwa v16, v1, s0 dst_sel:DWORD dst_unused:UNUSED_PAD src0_sel:BYTE_3 src1_sel:DWORD
	v_and_b32_e32 v18, 0x7f800000, v1
	s_mov_b64 s[0:1], 0x7f800000
	v_cmp_ne_u64_e32 vcc, s[0:1], v[18:19]
	s_and_saveexec_b64 s[0:1], vcc
	s_xor_b64 s[4:5], exec, s[0:1]
	s_cbranch_execz .LBB4_236
; %bb.227:
	v_and_b32_e32 v18, 0x7fffffff, v1
	s_mov_b64 s[0:1], 0x43700001
	v_cmp_gt_u64_e32 vcc, s[0:1], v[18:19]
	s_and_saveexec_b64 s[0:1], vcc
	s_xor_b64 s[6:7], exec, s[0:1]
	s_cbranch_execz .LBB4_235
; %bb.228:
	v_cmp_ne_u32_e32 vcc, 0, v1
	v_pk_mov_b32 v[16:17], 0, 0
	s_and_saveexec_b64 s[8:9], vcc
	s_cbranch_execz .LBB4_234
; %bb.229:
	v_bfe_u32 v9, v1, 23, 8
	s_movk_i32 s0, 0x78
	v_and_b32_e32 v2, 0x7fffff, v1
	v_sub_u32_e64 v11, s0, v9 clamp
	v_mov_b32_e32 v16, 0x77
	v_cmp_eq_u32_e32 vcc, 0, v9
	v_or_b32_e32 v13, 0x800000, v2
	v_add_u32_e32 v15, 0xffffff89, v9
	v_cndmask_b32_e32 v9, v11, v16, vcc
	v_cndmask_b32_e32 v18, v13, v2, vcc
	v_add_u32_e32 v2, 20, v9
	v_lshlrev_b64 v[16:17], v2, -1
	v_not_b32_e32 v2, v16
	v_mov_b32_e32 v19, 0
	v_and_b32_e32 v16, v18, v2
	v_add_u32_e32 v2, 19, v9
	v_mov_b32_e32 v17, v19
	v_lshlrev_b64 v[20:21], v2, 1
	v_cmp_eq_u64_e64 s[0:1], v[16:17], v[20:21]
	v_lshrrev_b64 v[16:17], v9, v[18:19]
	v_mov_b32_e32 v2, 0xffffff8a
	v_and_b32_e32 v18, 0x100000, v16
	v_cndmask_b32_e32 v2, v15, v2, vcc
	v_cmp_eq_u64_e32 vcc, 0, v[18:19]
	v_lshrrev_b32_e32 v11, 23, v16
	s_and_b64 vcc, vcc, s[0:1]
	v_add3_u32 v9, v2, v9, v11
	v_subbrev_co_u32_e32 v2, vcc, 0, v16, vcc
	v_and_b32_e32 v2, 0xfffff, v2
	v_add_co_u32_e32 v16, vcc, v2, v16
	v_add_u32_e32 v11, -1, v9
	v_addc_co_u32_e32 v17, vcc, 0, v17, vcc
	v_cmp_ne_u32_e32 vcc, 0, v11
                                        ; implicit-def: $vgpr2
	s_and_saveexec_b64 s[0:1], vcc
	s_xor_b64 s[0:1], exec, s[0:1]
; %bb.230:
	v_and_b32_e32 v18, 0x1000000, v16
	v_cmp_eq_u64_e32 vcc, 0, v[18:19]
	v_cndmask_b32_e32 v2, v9, v11, vcc
	v_bfe_u32 v9, v16, 24, 1
	v_lshrrev_b64 v[16:17], v9, v[16:17]
; %bb.231:
	s_andn2_saveexec_b64 s[0:1], s[0:1]
; %bb.232:
	v_bfe_u32 v2, v16, 23, 1
; %bb.233:
	s_or_b64 exec, exec, s[0:1]
	s_movk_i32 s0, 0x80
	v_lshrrev_b64 v[16:17], 20, v[16:17]
	v_cmp_gt_i32_e32 vcc, 16, v2
	v_and_b32_sdwa v1, v1, s0 dst_sel:DWORD dst_unused:UNUSED_PAD src0_sel:BYTE_3 src1_sel:DWORD
	v_min_i32_e32 v9, 15, v2
	v_cndmask_b32_e32 v17, 0, v17, vcc
	v_cndmask_b32_e32 v16, 7, v16, vcc
	v_cmp_eq_u32_e32 vcc, 0, v2
	v_cmp_eq_u64_e64 s[0:1], 0, v[16:17]
	v_lshl_or_b32 v1, v9, 3, v1
	v_and_or_b32 v1, v16, 7, v1
	s_and_b64 s[0:1], vcc, s[0:1]
	v_cndmask_b32_e64 v16, v1, 0, s[0:1]
.LBB4_234:
	s_or_b64 exec, exec, s[8:9]
.LBB4_235:
	s_andn2_saveexec_b64 s[0:1], s[6:7]
	s_or_b64 exec, exec, s[0:1]
.LBB4_236:
	s_andn2_saveexec_b64 s[0:1], s[4:5]
	s_or_b64 exec, exec, s[0:1]
	v_and_b32_e32 v1, 0xffff, v3
	;;#ASMSTART
	v_cvt_f32_f16 v1, v1;
	;;#ASMEND
	v_mul_f32_e32 v1, v24, v1
	v_min_f32_e32 v1, 0x43600000, v1
	v_max_f32_e32 v1, 0xc3600000, v1
	s_movk_i32 s0, 0x7f
	v_mov_b32_e32 v21, 0
	v_or_b32_sdwa v18, v1, s0 dst_sel:DWORD dst_unused:UNUSED_PAD src0_sel:BYTE_3 src1_sel:DWORD
	v_and_b32_e32 v20, 0x7f800000, v1
	s_mov_b64 s[0:1], 0x7f800000
	v_cmp_ne_u64_e32 vcc, s[0:1], v[20:21]
	s_and_saveexec_b64 s[0:1], vcc
	s_xor_b64 s[4:5], exec, s[0:1]
	s_cbranch_execz .LBB4_246
; %bb.237:
	v_and_b32_e32 v20, 0x7fffffff, v1
	s_mov_b64 s[0:1], 0x43700001
	v_cmp_gt_u64_e32 vcc, s[0:1], v[20:21]
	s_and_saveexec_b64 s[0:1], vcc
	s_xor_b64 s[6:7], exec, s[0:1]
	s_cbranch_execz .LBB4_245
; %bb.238:
	v_cmp_ne_u32_e32 vcc, 0, v1
	v_pk_mov_b32 v[18:19], 0, 0
	s_and_saveexec_b64 s[8:9], vcc
	s_cbranch_execz .LBB4_244
; %bb.239:
	v_bfe_u32 v9, v1, 23, 8
	s_movk_i32 s0, 0x78
	v_and_b32_e32 v2, 0x7fffff, v1
	v_sub_u32_e64 v11, s0, v9 clamp
	v_mov_b32_e32 v17, 0x77
	v_cmp_eq_u32_e32 vcc, 0, v9
	v_or_b32_e32 v13, 0x800000, v2
	v_add_u32_e32 v15, 0xffffff89, v9
	v_cndmask_b32_e32 v9, v11, v17, vcc
	v_cndmask_b32_e32 v20, v13, v2, vcc
	v_add_u32_e32 v2, 20, v9
	v_lshlrev_b64 v[18:19], v2, -1
	v_not_b32_e32 v2, v18
	v_mov_b32_e32 v21, 0
	v_and_b32_e32 v18, v20, v2
	v_add_u32_e32 v2, 19, v9
	v_mov_b32_e32 v19, v21
	v_lshlrev_b64 v[26:27], v2, 1
	v_cmp_eq_u64_e64 s[0:1], v[18:19], v[26:27]
	v_lshrrev_b64 v[18:19], v9, v[20:21]
	v_mov_b32_e32 v2, 0xffffff8a
	v_and_b32_e32 v20, 0x100000, v18
	v_cndmask_b32_e32 v2, v15, v2, vcc
	v_cmp_eq_u64_e32 vcc, 0, v[20:21]
	v_lshrrev_b32_e32 v11, 23, v18
	s_and_b64 vcc, vcc, s[0:1]
	v_add3_u32 v9, v2, v9, v11
	v_subbrev_co_u32_e32 v2, vcc, 0, v18, vcc
	v_and_b32_e32 v2, 0xfffff, v2
	v_add_co_u32_e32 v18, vcc, v2, v18
	v_add_u32_e32 v11, -1, v9
	v_addc_co_u32_e32 v19, vcc, 0, v19, vcc
	v_cmp_ne_u32_e32 vcc, 0, v11
                                        ; implicit-def: $vgpr2
	s_and_saveexec_b64 s[0:1], vcc
	s_xor_b64 s[0:1], exec, s[0:1]
; %bb.240:
	v_and_b32_e32 v20, 0x1000000, v18
	v_cmp_eq_u64_e32 vcc, 0, v[20:21]
	v_cndmask_b32_e32 v2, v9, v11, vcc
	v_bfe_u32 v9, v18, 24, 1
	v_lshrrev_b64 v[18:19], v9, v[18:19]
; %bb.241:
	s_andn2_saveexec_b64 s[0:1], s[0:1]
; %bb.242:
	v_bfe_u32 v2, v18, 23, 1
; %bb.243:
	s_or_b64 exec, exec, s[0:1]
	s_movk_i32 s0, 0x80
	v_lshrrev_b64 v[18:19], 20, v[18:19]
	v_cmp_gt_i32_e32 vcc, 16, v2
	v_and_b32_sdwa v1, v1, s0 dst_sel:DWORD dst_unused:UNUSED_PAD src0_sel:BYTE_3 src1_sel:DWORD
	v_min_i32_e32 v9, 15, v2
	v_cndmask_b32_e32 v19, 0, v19, vcc
	v_cndmask_b32_e32 v18, 7, v18, vcc
	v_cmp_eq_u32_e32 vcc, 0, v2
	v_cmp_eq_u64_e64 s[0:1], 0, v[18:19]
	v_lshl_or_b32 v1, v9, 3, v1
	v_and_or_b32 v1, v18, 7, v1
	s_and_b64 s[0:1], vcc, s[0:1]
	v_cndmask_b32_e64 v18, v1, 0, s[0:1]
.LBB4_244:
	s_or_b64 exec, exec, s[8:9]
.LBB4_245:
	s_andn2_saveexec_b64 s[0:1], s[6:7]
	s_or_b64 exec, exec, s[0:1]
.LBB4_246:
	s_andn2_saveexec_b64 s[0:1], s[4:5]
	s_or_b64 exec, exec, s[0:1]
	v_lshrrev_b32_e32 v1, 16, v3
	;;#ASMSTART
	v_cvt_f32_f16 v1, v1;
	;;#ASMEND
	v_mul_f32_e32 v1, v24, v1
	v_min_f32_e32 v1, 0x43600000, v1
	v_max_f32_e32 v1, 0xc3600000, v1
	s_movk_i32 s0, 0x7f
	v_mov_b32_e32 v21, 0
	v_or_b32_sdwa v2, v1, s0 dst_sel:DWORD dst_unused:UNUSED_PAD src0_sel:BYTE_3 src1_sel:DWORD
	v_and_b32_e32 v20, 0x7f800000, v1
	s_mov_b64 s[0:1], 0x7f800000
	v_cmp_ne_u64_e32 vcc, s[0:1], v[20:21]
	s_and_saveexec_b64 s[0:1], vcc
	s_xor_b64 s[4:5], exec, s[0:1]
	s_cbranch_execz .LBB4_256
; %bb.247:
	v_and_b32_e32 v20, 0x7fffffff, v1
	s_mov_b64 s[0:1], 0x43700001
	v_cmp_gt_u64_e32 vcc, s[0:1], v[20:21]
	s_and_saveexec_b64 s[0:1], vcc
	s_xor_b64 s[6:7], exec, s[0:1]
	s_cbranch_execz .LBB4_255
; %bb.248:
	v_cmp_ne_u32_e32 vcc, 0, v1
	v_pk_mov_b32 v[2:3], 0, 0
	s_and_saveexec_b64 s[8:9], vcc
	s_cbranch_execz .LBB4_254
; %bb.249:
	v_bfe_u32 v3, v1, 23, 8
	s_movk_i32 s0, 0x78
	v_and_b32_e32 v2, 0x7fffff, v1
	v_sub_u32_e64 v9, s0, v3 clamp
	v_mov_b32_e32 v15, 0x77
	v_cmp_eq_u32_e32 vcc, 0, v3
	v_or_b32_e32 v11, 0x800000, v2
	v_cndmask_b32_e32 v9, v9, v15, vcc
	v_cndmask_b32_e32 v20, v11, v2, vcc
	v_add_u32_e32 v2, 20, v9
	v_add_u32_e32 v13, 0xffffff89, v3
	v_lshlrev_b64 v[2:3], v2, -1
	v_mov_b32_e32 v21, 0
	v_not_b32_e32 v2, v2
	v_add_u32_e32 v11, 19, v9
	v_and_b32_e32 v2, v20, v2
	v_mov_b32_e32 v3, v21
	v_lshlrev_b64 v[26:27], v11, 1
	v_cmp_eq_u64_e64 s[0:1], v[2:3], v[26:27]
	v_lshrrev_b64 v[2:3], v9, v[20:21]
	v_mov_b32_e32 v11, 0xffffff8a
	v_and_b32_e32 v20, 0x100000, v2
	v_cndmask_b32_e32 v11, v13, v11, vcc
	v_cmp_eq_u64_e32 vcc, 0, v[20:21]
	v_lshrrev_b32_e32 v13, 23, v2
	s_and_b64 vcc, vcc, s[0:1]
	v_add3_u32 v11, v11, v9, v13
	v_subbrev_co_u32_e32 v9, vcc, 0, v2, vcc
	v_and_b32_e32 v9, 0xfffff, v9
	v_add_co_u32_e32 v2, vcc, v9, v2
	v_add_u32_e32 v13, -1, v11
	v_addc_co_u32_e32 v3, vcc, 0, v3, vcc
	v_cmp_ne_u32_e32 vcc, 0, v13
                                        ; implicit-def: $vgpr9
	s_and_saveexec_b64 s[0:1], vcc
	s_xor_b64 s[0:1], exec, s[0:1]
; %bb.250:
	v_and_b32_e32 v20, 0x1000000, v2
	v_cmp_eq_u64_e32 vcc, 0, v[20:21]
	v_cndmask_b32_e32 v9, v11, v13, vcc
	v_bfe_u32 v11, v2, 24, 1
	v_lshrrev_b64 v[2:3], v11, v[2:3]
; %bb.251:
	s_andn2_saveexec_b64 s[0:1], s[0:1]
; %bb.252:
	v_bfe_u32 v9, v2, 23, 1
; %bb.253:
	s_or_b64 exec, exec, s[0:1]
	s_movk_i32 s0, 0x80
	v_lshrrev_b64 v[2:3], 20, v[2:3]
	v_cmp_gt_i32_e32 vcc, 16, v9
	v_and_b32_sdwa v1, v1, s0 dst_sel:DWORD dst_unused:UNUSED_PAD src0_sel:BYTE_3 src1_sel:DWORD
	v_min_i32_e32 v11, 15, v9
	v_cndmask_b32_e32 v3, 0, v3, vcc
	v_cndmask_b32_e32 v2, 7, v2, vcc
	v_cmp_eq_u32_e32 vcc, 0, v9
	v_cmp_eq_u64_e64 s[0:1], 0, v[2:3]
	v_lshl_or_b32 v1, v11, 3, v1
	v_and_or_b32 v1, v2, 7, v1
	s_and_b64 s[0:1], vcc, s[0:1]
	v_cndmask_b32_e64 v2, v1, 0, s[0:1]
.LBB4_254:
	s_or_b64 exec, exec, s[8:9]
.LBB4_255:
	s_andn2_saveexec_b64 s[0:1], s[6:7]
	s_or_b64 exec, exec, s[0:1]
.LBB4_256:
	s_andn2_saveexec_b64 s[0:1], s[4:5]
	s_or_b64 exec, exec, s[0:1]
	v_lshlrev_b32_e32 v1, 24, v2
	v_lshlrev_b32_e32 v2, 16, v18
	v_and_b32_e32 v2, 0xff0000, v2
	v_or_b32_e32 v1, v1, v2
	v_lshlrev_b32_e32 v2, 8, v16
	v_and_b32_e32 v2, 0xff00, v2
	v_and_b32_e32 v3, 0xff, v14
	v_or3_b32 v1, v1, v2, v3
	v_lshlrev_b32_e32 v2, 16, v12
	s_mov_b32 s1, 0x4020c0c
	v_lshlrev_b64 v[20:21], 3, v[4:5]
	s_mov_b32 s0, 0xff00
	v_lshlrev_b32_e32 v3, 8, v10
	v_perm_b32 v0, v0, v2, s1
	v_add_co_u32_e32 v20, vcc, v22, v20
	v_and_or_b32 v0, v3, s0, v0
	v_addc_co_u32_e32 v21, vcc, v23, v21, vcc
	v_or_b32_sdwa v0, v0, v8 dst_sel:DWORD dst_unused:UNUSED_PAD src0_sel:DWORD src1_sel:BYTE_0
	global_store_dwordx2 v[20:21], v[0:1], off
.LBB4_257:
	s_or_b64 exec, exec, s[2:3]
	s_cmp_lg_u64 s[10:11], 0
	s_cselect_b64 s[0:1], -1, 0
	v_cmp_eq_u32_e32 vcc, 0, v4
	s_and_b64 s[0:1], s[0:1], vcc
	s_and_saveexec_b64 s[2:3], s[0:1]
	s_cbranch_execz .LBB4_259
; %bb.258:
	v_mov_b32_e32 v1, s11
	v_add_co_u32_e32 v0, vcc, s10, v6
	v_addc_co_u32_e32 v1, vcc, v1, v7, vcc
	global_store_dword v[0:1], v25, off
.LBB4_259:
	s_endpgm
	.section	.rodata,"a",@progbits
	.p2align	6, 0x0
	.amdhsa_kernel _ZN4vllm24merge_attn_states_kernelItN3c1015Float8_e4m3fnuzELj128ELb1EEEvPT0_PfPKT_PKfS8_SA_jjjjjjSA_
		.amdhsa_group_segment_fixed_size 0
		.amdhsa_private_segment_fixed_size 0
		.amdhsa_kernarg_size 80
		.amdhsa_user_sgpr_count 6
		.amdhsa_user_sgpr_private_segment_buffer 1
		.amdhsa_user_sgpr_dispatch_ptr 0
		.amdhsa_user_sgpr_queue_ptr 0
		.amdhsa_user_sgpr_kernarg_segment_ptr 1
		.amdhsa_user_sgpr_dispatch_id 0
		.amdhsa_user_sgpr_flat_scratch_init 0
		.amdhsa_user_sgpr_kernarg_preload_length 0
		.amdhsa_user_sgpr_kernarg_preload_offset 0
		.amdhsa_user_sgpr_private_segment_size 0
		.amdhsa_uses_dynamic_stack 0
		.amdhsa_system_sgpr_private_segment_wavefront_offset 0
		.amdhsa_system_sgpr_workgroup_id_x 1
		.amdhsa_system_sgpr_workgroup_id_y 0
		.amdhsa_system_sgpr_workgroup_id_z 0
		.amdhsa_system_sgpr_workgroup_info 0
		.amdhsa_system_vgpr_workitem_id 0
		.amdhsa_next_free_vgpr 34
		.amdhsa_next_free_sgpr 24
		.amdhsa_accum_offset 36
		.amdhsa_reserve_vcc 1
		.amdhsa_reserve_flat_scratch 0
		.amdhsa_float_round_mode_32 0
		.amdhsa_float_round_mode_16_64 0
		.amdhsa_float_denorm_mode_32 3
		.amdhsa_float_denorm_mode_16_64 3
		.amdhsa_dx10_clamp 1
		.amdhsa_ieee_mode 1
		.amdhsa_fp16_overflow 0
		.amdhsa_tg_split 0
		.amdhsa_exception_fp_ieee_invalid_op 0
		.amdhsa_exception_fp_denorm_src 0
		.amdhsa_exception_fp_ieee_div_zero 0
		.amdhsa_exception_fp_ieee_overflow 0
		.amdhsa_exception_fp_ieee_underflow 0
		.amdhsa_exception_fp_ieee_inexact 0
		.amdhsa_exception_int_div_zero 0
	.end_amdhsa_kernel
	.section	.text._ZN4vllm24merge_attn_states_kernelItN3c1015Float8_e4m3fnuzELj128ELb1EEEvPT0_PfPKT_PKfS8_SA_jjjjjjSA_,"axG",@progbits,_ZN4vllm24merge_attn_states_kernelItN3c1015Float8_e4m3fnuzELj128ELb1EEEvPT0_PfPKT_PKfS8_SA_jjjjjjSA_,comdat
.Lfunc_end4:
	.size	_ZN4vllm24merge_attn_states_kernelItN3c1015Float8_e4m3fnuzELj128ELb1EEEvPT0_PfPKT_PKfS8_SA_jjjjjjSA_, .Lfunc_end4-_ZN4vllm24merge_attn_states_kernelItN3c1015Float8_e4m3fnuzELj128ELb1EEEvPT0_PfPKT_PKfS8_SA_jjjjjjSA_
                                        ; -- End function
	.section	.AMDGPU.csdata,"",@progbits
; Kernel info:
; codeLenInByte = 13336
; NumSgprs: 28
; NumVgprs: 34
; NumAgprs: 0
; TotalNumVgprs: 34
; ScratchSize: 0
; MemoryBound: 0
; FloatMode: 240
; IeeeMode: 1
; LDSByteSize: 0 bytes/workgroup (compile time only)
; SGPRBlocks: 3
; VGPRBlocks: 4
; NumSGPRsForWavesPerEU: 28
; NumVGPRsForWavesPerEU: 34
; AccumOffset: 36
; Occupancy: 8
; WaveLimiterHint : 0
; COMPUTE_PGM_RSRC2:SCRATCH_EN: 0
; COMPUTE_PGM_RSRC2:USER_SGPR: 6
; COMPUTE_PGM_RSRC2:TRAP_HANDLER: 0
; COMPUTE_PGM_RSRC2:TGID_X_EN: 1
; COMPUTE_PGM_RSRC2:TGID_Y_EN: 0
; COMPUTE_PGM_RSRC2:TGID_Z_EN: 0
; COMPUTE_PGM_RSRC2:TIDIG_COMP_CNT: 0
; COMPUTE_PGM_RSRC3_GFX90A:ACCUM_OFFSET: 8
; COMPUTE_PGM_RSRC3_GFX90A:TG_SPLIT: 0
	.section	.text._ZN4vllm24merge_attn_states_kernelIttLj128ELb0EEEvPT0_PfPKT_PKfS6_S8_jjjjjjS8_,"axG",@progbits,_ZN4vllm24merge_attn_states_kernelIttLj128ELb0EEEvPT0_PfPKT_PKfS6_S8_jjjjjjS8_,comdat
	.protected	_ZN4vllm24merge_attn_states_kernelIttLj128ELb0EEEvPT0_PfPKT_PKfS6_S8_jjjjjjS8_ ; -- Begin function _ZN4vllm24merge_attn_states_kernelIttLj128ELb0EEEvPT0_PfPKT_PKfS6_S8_jjjjjjS8_
	.globl	_ZN4vllm24merge_attn_states_kernelIttLj128ELb0EEEvPT0_PfPKT_PKfS6_S8_jjjjjjS8_
	.p2align	8
	.type	_ZN4vllm24merge_attn_states_kernelIttLj128ELb0EEEvPT0_PfPKT_PKfS6_S8_jjjjjjS8_,@function
_ZN4vllm24merge_attn_states_kernelIttLj128ELb0EEEvPT0_PfPKT_PKfS6_S8_jjjjjjS8_: ; @_ZN4vllm24merge_attn_states_kernelIttLj128ELb0EEEvPT0_PfPKT_PKfS6_S8_jjjjjjS8_
; %bb.0:
	s_load_dwordx4 s[0:3], s[4:5], 0x30
	v_lshl_add_u32 v0, s6, 7, v0
	s_waitcnt lgkmcnt(0)
	s_lshr_b32 s6, s2, 3
	s_mul_i32 s7, s1, s0
	s_mul_i32 s7, s7, s6
	v_cmp_gt_u32_e32 vcc, s7, v0
	s_and_saveexec_b64 s[8:9], vcc
	s_cbranch_execz .LBB5_19
; %bb.1:
	v_cvt_f32_u32_e32 v1, s6
	s_load_dwordx8 s[8:15], s[4:5], 0x0
	s_load_dwordx2 s[20:21], s[4:5], 0x40
	s_load_dwordx4 s[16:19], s[4:5], 0x20
	s_sub_i32 s4, 0, s6
	v_rcp_iflag_f32_e32 v1, v1
	v_cvt_f32_u32_e32 v2, s1
	v_mov_b32_e32 v7, 0
	v_mov_b32_e32 v9, v7
	v_mul_f32_e32 v1, 0x4f7ffffe, v1
	v_cvt_u32_f32_e32 v1, v1
	v_rcp_iflag_f32_e32 v2, v2
	v_mul_lo_u32 v3, s4, v1
	v_mul_hi_u32 v3, v1, v3
	v_add_u32_e32 v1, v1, v3
	v_mul_hi_u32 v1, v0, v1
	v_mul_lo_u32 v3, v1, s6
	v_sub_u32_e32 v3, v0, v3
	v_add_u32_e32 v4, 1, v1
	v_cmp_le_u32_e32 vcc, s6, v3
	v_cndmask_b32_e32 v1, v1, v4, vcc
	v_subrev_u32_e32 v4, s6, v3
	v_cndmask_b32_e32 v3, v3, v4, vcc
	v_add_u32_e32 v4, 1, v1
	v_cmp_le_u32_e32 vcc, s6, v3
	v_cndmask_b32_e32 v4, v1, v4, vcc
	v_mul_f32_e32 v1, 0x4f7ffffe, v2
	v_cvt_u32_f32_e32 v1, v1
	v_mul_lo_u32 v2, v4, s6
	s_sub_i32 s4, 0, s1
	v_sub_u32_e32 v0, v0, v2
	v_mul_lo_u32 v2, s4, v1
	v_mul_hi_u32 v2, v1, v2
	v_add_u32_e32 v1, v1, v2
	v_mul_hi_u32 v1, v4, v1
	v_mul_lo_u32 v2, v1, s1
	v_sub_u32_e32 v2, v4, v2
	v_add_u32_e32 v3, 1, v1
	v_cmp_le_u32_e32 vcc, s1, v2
	v_cndmask_b32_e32 v1, v1, v3, vcc
	v_subrev_u32_e32 v3, s1, v2
	v_cndmask_b32_e32 v2, v2, v3, vcc
	v_add_u32_e32 v3, 1, v1
	v_cmp_le_u32_e32 vcc, s1, v2
	v_cndmask_b32_e32 v2, v1, v3, vcc
	v_mul_lo_u32 v1, v2, s1
	v_mul_lo_u32 v6, v4, s3
	v_sub_u32_e32 v3, v4, v1
	s_waitcnt lgkmcnt(0)
	v_mul_lo_u32 v8, v4, s20
	v_lshlrev_b64 v[4:5], 1, v[6:7]
	v_mov_b32_e32 v6, s17
	v_add_co_u32_e32 v10, vcc, s16, v4
	v_addc_co_u32_e32 v11, vcc, v6, v5, vcc
	v_lshlrev_b64 v[6:7], 1, v[8:9]
	v_mov_b32_e32 v8, s9
	v_add_co_u32_e32 v6, vcc, s8, v6
	v_addc_co_u32_e32 v7, vcc, v8, v7, vcc
	v_lshlrev_b32_e32 v1, 3, v0
	v_cmp_le_u32_e32 vcc, s21, v2
	s_and_saveexec_b64 s[4:5], vcc
	s_xor_b64 s[4:5], exec, s[4:5]
	s_cbranch_execz .LBB5_7
; %bb.2:
	v_cmp_gt_u32_e32 vcc, s2, v1
	s_and_saveexec_b64 s[6:7], vcc
	s_cbranch_execz .LBB5_4
; %bb.3:
	v_mov_b32_e32 v1, 0
	v_lshlrev_b64 v[4:5], 4, v[0:1]
	v_add_co_u32_e32 v8, vcc, v10, v4
	v_addc_co_u32_e32 v9, vcc, v11, v5, vcc
	global_load_dwordx4 v[8:11], v[8:9], off
	v_add_co_u32_e32 v4, vcc, v6, v4
	v_addc_co_u32_e32 v5, vcc, v7, v5, vcc
	s_waitcnt vmcnt(0)
	global_store_dwordx4 v[4:5], v[8:11], off
.LBB5_4:
	s_or_b64 exec, exec, s[6:7]
	s_cmp_lg_u64 s[10:11], 0
	s_cselect_b64 s[6:7], -1, 0
	v_cmp_eq_u32_e32 vcc, 0, v0
	s_and_b64 s[8:9], s[6:7], vcc
	s_and_saveexec_b64 s[6:7], s[8:9]
	s_cbranch_execz .LBB5_6
; %bb.5:
	v_mad_u64_u32 v[0:1], s[8:9], v3, s0, v[2:3]
	v_mov_b32_e32 v1, 0
	v_lshlrev_b64 v[0:1], 2, v[0:1]
	v_mov_b32_e32 v3, s19
	v_add_co_u32_e32 v2, vcc, s18, v0
	v_addc_co_u32_e32 v3, vcc, v3, v1, vcc
	global_load_dword v2, v[2:3], off
	v_mov_b32_e32 v3, s11
	v_add_co_u32_e32 v0, vcc, s10, v0
	v_addc_co_u32_e32 v1, vcc, v3, v1, vcc
	s_waitcnt vmcnt(0)
	global_store_dword v[0:1], v2, off
.LBB5_6:
	s_or_b64 exec, exec, s[6:7]
                                        ; implicit-def: $vgpr0
                                        ; implicit-def: $vgpr2
                                        ; implicit-def: $vgpr3
                                        ; implicit-def: $vgpr1
                                        ; implicit-def: $vgpr4_vgpr5
                                        ; implicit-def: $vgpr10
                                        ; implicit-def: $vgpr11
                                        ; implicit-def: $vgpr6
                                        ; implicit-def: $vgpr7
.LBB5_7:
	s_andn2_saveexec_b64 s[4:5], s[4:5]
	s_cbranch_execz .LBB5_19
; %bb.8:
	v_mad_u64_u32 v[2:3], s[0:1], v3, s0, v[2:3]
	v_mov_b32_e32 v3, 0
	v_lshlrev_b64 v[2:3], 2, v[2:3]
	v_mov_b32_e32 v9, s15
	v_add_co_u32_e32 v8, vcc, s14, v2
	v_addc_co_u32_e32 v9, vcc, v9, v3, vcc
	global_load_dword v14, v[8:9], off
	v_mov_b32_e32 v9, s19
	v_add_co_u32_e32 v8, vcc, s18, v2
	v_addc_co_u32_e32 v9, vcc, v9, v3, vcc
	global_load_dword v8, v[8:9], off
	v_mov_b32_e32 v9, s13
	v_add_co_u32_e32 v12, vcc, s12, v4
	s_mov_b32 s0, 0x7f800000
	v_addc_co_u32_e32 v13, vcc, v9, v5, vcc
	v_mov_b32_e32 v15, 0xff800000
	s_waitcnt vmcnt(1)
	v_cmp_neq_f32_e64 vcc, |v14|, s0
	v_cndmask_b32_e32 v5, v15, v14, vcc
	s_waitcnt vmcnt(0)
	v_cmp_neq_f32_e64 vcc, |v8|, s0
	v_cndmask_b32_e32 v4, v15, v8, vcc
	v_max_f32_e32 v8, v5, v5
	v_max_f32_e32 v9, v4, v4
	v_max_f32_e32 v8, v8, v9
	v_cmp_neq_f32_e64 s[0:1], |v8|, s0
	s_and_saveexec_b64 s[4:5], s[0:1]
	s_xor_b64 s[4:5], exec, s[4:5]
	s_cbranch_execz .LBB5_14
; %bb.9:
	v_sub_f32_e32 v5, v5, v8
	s_mov_b32 s0, 0x3fb8aa3b
	v_mul_f32_e32 v9, 0x3fb8aa3b, v5
	v_fma_f32 v14, v5, s0, -v9
	v_rndne_f32_e32 v15, v9
	v_fmac_f32_e32 v14, 0x32a5705f, v5
	v_sub_f32_e32 v9, v9, v15
	v_add_f32_e32 v9, v9, v14
	v_exp_f32_e32 v9, v9
	v_cvt_i32_f32_e32 v14, v15
	v_sub_f32_e32 v4, v4, v8
	s_mov_b32 s1, 0xc2ce8ed0
	v_cmp_ngt_f32_e32 vcc, s1, v5
	v_ldexp_f32 v9, v9, v14
	v_mul_f32_e32 v14, 0x3fb8aa3b, v4
	v_fma_f32 v15, v4, s0, -v14
	v_rndne_f32_e32 v16, v14
	v_fmac_f32_e32 v15, 0x32a5705f, v4
	v_sub_f32_e32 v14, v14, v16
	v_add_f32_e32 v14, v14, v15
	v_exp_f32_e32 v15, v14
	v_cvt_i32_f32_e32 v16, v16
	s_mov_b32 s3, 0x42b17218
	v_cndmask_b32_e32 v9, 0, v9, vcc
	v_mov_b32_e32 v17, 0x7f800000
	v_cmp_nlt_f32_e32 vcc, s3, v5
	v_cndmask_b32_e32 v14, v17, v9, vcc
	v_ldexp_f32 v5, v15, v16
	v_cmp_ngt_f32_e32 vcc, s1, v4
	v_cndmask_b32_e32 v5, 0, v5, vcc
	v_cmp_nlt_f32_e32 vcc, s3, v4
	v_cndmask_b32_e32 v15, v17, v5, vcc
	v_add_f32_e32 v9, v14, v15
	v_cmp_gt_u32_e32 vcc, s2, v1
	s_and_saveexec_b64 s[6:7], vcc
	s_cbranch_execz .LBB5_11
; %bb.10:
	v_mov_b32_e32 v1, 0
	v_lshlrev_b64 v[4:5], 4, v[0:1]
	v_add_co_u32_e32 v12, vcc, v12, v4
	v_addc_co_u32_e32 v13, vcc, v13, v5, vcc
	v_add_co_u32_e32 v10, vcc, v10, v4
	v_addc_co_u32_e32 v11, vcc, v11, v5, vcc
	global_load_dwordx4 v[16:19], v[12:13], off
	v_div_scale_f32 v1, s[0:1], v9, v9, v15
	global_load_dwordx4 v[10:13], v[10:11], off
	v_div_scale_f32 v21, s[0:1], v9, v9, v14
	v_rcp_f32_e32 v22, v1
	v_rcp_f32_e32 v23, v21
	v_div_scale_f32 v20, vcc, v15, v9, v15
	v_fma_f32 v25, -v1, v22, 1.0
	v_fma_f32 v26, -v21, v23, 1.0
	v_fmac_f32_e32 v22, v25, v22
	v_div_scale_f32 v24, s[0:1], v14, v9, v14
	v_fmac_f32_e32 v23, v26, v23
	v_mul_f32_e32 v25, v20, v22
	v_mul_f32_e32 v26, v24, v23
	v_fma_f32 v27, -v1, v25, v20
	v_fma_f32 v28, -v21, v26, v24
	v_fmac_f32_e32 v25, v27, v22
	v_fmac_f32_e32 v26, v28, v23
	v_fma_f32 v1, -v1, v25, v20
	v_fma_f32 v20, -v21, v26, v24
	v_div_fmas_f32 v1, v1, v22, v25
	s_mov_b64 vcc, s[0:1]
	v_div_fixup_f32 v1, v1, v9, v15
	v_div_fmas_f32 v15, v20, v23, v26
	v_div_fixup_f32 v14, v15, v9, v14
	s_mov_b32 s0, 0x5040100
	s_waitcnt vmcnt(1)
	v_lshrrev_b32_e32 v15, 16, v16
	v_and_b32_e32 v16, 0xffff, v16
	v_lshrrev_b32_e32 v20, 16, v17
	s_waitcnt vmcnt(0)
	v_lshrrev_b32_e32 v23, 16, v10
	v_and_b32_e32 v10, 0xffff, v10
	v_lshrrev_b32_e32 v21, 16, v18
	v_lshrrev_b32_e32 v22, 16, v19
	;; [unrolled: 1-line block ×5, first 2 shown]
	v_and_b32_e32 v17, 0xffff, v17
	v_and_b32_e32 v11, 0xffff, v11
	v_and_b32_e32 v18, 0xffff, v18
	v_and_b32_e32 v12, 0xffff, v12
	v_and_b32_e32 v19, 0xffff, v19
	v_and_b32_e32 v13, 0xffff, v13
	;;#ASMSTART
	v_cvt_f32_f16 v16, v16;
	;;#ASMEND
	;;#ASMSTART
	v_cvt_f32_f16 v10, v10;
	;;#ASMEND
	;; [unrolled: 3-line block ×14, first 2 shown]
	v_mul_f32_e32 v10, v1, v10
	;;#ASMSTART
	v_cvt_f32_f16 v22, v22;
	;;#ASMEND
	;;#ASMSTART
	v_cvt_f32_f16 v26, v26;
	;;#ASMEND
	v_mul_f32_e32 v23, v1, v23
	v_mul_f32_e32 v11, v1, v11
	v_mul_f32_e32 v24, v1, v24
	v_mul_f32_e32 v12, v1, v12
	v_mul_f32_e32 v25, v1, v25
	v_mul_f32_e32 v13, v1, v13
	v_mul_f32_e32 v1, v1, v26
	v_fmac_f32_e32 v10, v14, v16
	v_fmac_f32_e32 v23, v14, v15
	;; [unrolled: 1-line block ×8, first 2 shown]
	;;#ASMSTART
	v_cvt_f16_f32 v14, v10;

	;;#ASMEND
	v_add_co_u32_e32 v10, vcc, v6, v4
	;;#ASMSTART
	v_cvt_f16_f32 v15, v23;

	;;#ASMEND
	;;#ASMSTART
	v_cvt_f16_f32 v16, v11;

	;;#ASMEND
	;; [unrolled: 4-line block ×7, first 2 shown]
	v_addc_co_u32_e32 v11, vcc, v7, v5, vcc
	v_perm_b32 v4, v15, v14, s0
	v_perm_b32 v5, v17, v16, s0
	v_perm_b32 v6, v18, v12, s0
	v_perm_b32 v7, v1, v13, s0
	global_store_dwordx4 v[10:11], v[4:7], off
.LBB5_11:
	s_or_b64 exec, exec, s[6:7]
	s_cmp_lg_u64 s[10:11], 0
	s_cselect_b64 s[0:1], -1, 0
	v_cmp_eq_u32_e32 vcc, 0, v0
	s_and_b64 s[0:1], s[0:1], vcc
	s_and_saveexec_b64 s[6:7], s[0:1]
	s_cbranch_execz .LBB5_13
; %bb.12:
	s_mov_b32 s0, 0x800000
	v_mov_b32_e32 v0, 0x4f800000
	v_cmp_gt_f32_e32 vcc, s0, v9
	v_cndmask_b32_e32 v0, 1.0, v0, vcc
	v_mul_f32_e32 v0, v9, v0
	v_log_f32_e32 v4, v0
	v_mov_b32_e32 v1, s11
	v_add_co_u32_e64 v0, s[0:1], s10, v2
	v_addc_co_u32_e64 v1, s[0:1], v1, v3, s[0:1]
	s_mov_b32 s0, 0x3f317217
	v_mul_f32_e32 v2, 0x3f317217, v4
	v_fma_f32 v3, v4, s0, -v2
	v_fmac_f32_e32 v3, 0x3377d1cf, v4
	s_mov_b32 s0, 0x7f800000
	v_add_f32_e32 v2, v2, v3
	v_cmp_lt_f32_e64 s[0:1], |v4|, s0
	v_mov_b32_e32 v3, 0x41b17218
	v_cndmask_b32_e64 v2, v4, v2, s[0:1]
	v_cndmask_b32_e32 v3, 0, v3, vcc
	v_sub_f32_e32 v2, v2, v3
	v_add_f32_e32 v2, v8, v2
	global_store_dword v[0:1], v2, off
.LBB5_13:
	s_or_b64 exec, exec, s[6:7]
                                        ; implicit-def: $vgpr0
                                        ; implicit-def: $vgpr2_vgpr3
                                        ; implicit-def: $vgpr8
                                        ; implicit-def: $vgpr1
                                        ; implicit-def: $vgpr6
                                        ; implicit-def: $vgpr7
                                        ; implicit-def: $vgpr12
                                        ; implicit-def: $vgpr13
.LBB5_14:
	s_andn2_saveexec_b64 s[0:1], s[4:5]
	s_cbranch_execz .LBB5_19
; %bb.15:
	v_cmp_gt_u32_e32 vcc, s2, v1
	s_and_saveexec_b64 s[0:1], vcc
	s_cbranch_execz .LBB5_17
; %bb.16:
	v_mov_b32_e32 v1, 0
	v_lshlrev_b64 v[4:5], 4, v[0:1]
	v_add_co_u32_e32 v10, vcc, v12, v4
	v_addc_co_u32_e32 v11, vcc, v13, v5, vcc
	global_load_dwordx4 v[10:13], v[10:11], off
	v_add_co_u32_e32 v4, vcc, v6, v4
	v_addc_co_u32_e32 v5, vcc, v7, v5, vcc
	s_waitcnt vmcnt(0)
	global_store_dwordx4 v[4:5], v[10:13], off
.LBB5_17:
	s_or_b64 exec, exec, s[0:1]
	s_cmp_lg_u64 s[10:11], 0
	s_cselect_b64 s[0:1], -1, 0
	v_cmp_eq_u32_e32 vcc, 0, v0
	s_and_b64 s[0:1], s[0:1], vcc
	s_and_saveexec_b64 s[2:3], s[0:1]
	s_cbranch_execz .LBB5_19
; %bb.18:
	v_mov_b32_e32 v1, s11
	v_add_co_u32_e32 v0, vcc, s10, v2
	v_addc_co_u32_e32 v1, vcc, v1, v3, vcc
	global_store_dword v[0:1], v8, off
.LBB5_19:
	s_endpgm
	.section	.rodata,"a",@progbits
	.p2align	6, 0x0
	.amdhsa_kernel _ZN4vllm24merge_attn_states_kernelIttLj128ELb0EEEvPT0_PfPKT_PKfS6_S8_jjjjjjS8_
		.amdhsa_group_segment_fixed_size 0
		.amdhsa_private_segment_fixed_size 0
		.amdhsa_kernarg_size 80
		.amdhsa_user_sgpr_count 6
		.amdhsa_user_sgpr_private_segment_buffer 1
		.amdhsa_user_sgpr_dispatch_ptr 0
		.amdhsa_user_sgpr_queue_ptr 0
		.amdhsa_user_sgpr_kernarg_segment_ptr 1
		.amdhsa_user_sgpr_dispatch_id 0
		.amdhsa_user_sgpr_flat_scratch_init 0
		.amdhsa_user_sgpr_kernarg_preload_length 0
		.amdhsa_user_sgpr_kernarg_preload_offset 0
		.amdhsa_user_sgpr_private_segment_size 0
		.amdhsa_uses_dynamic_stack 0
		.amdhsa_system_sgpr_private_segment_wavefront_offset 0
		.amdhsa_system_sgpr_workgroup_id_x 1
		.amdhsa_system_sgpr_workgroup_id_y 0
		.amdhsa_system_sgpr_workgroup_id_z 0
		.amdhsa_system_sgpr_workgroup_info 0
		.amdhsa_system_vgpr_workitem_id 0
		.amdhsa_next_free_vgpr 29
		.amdhsa_next_free_sgpr 22
		.amdhsa_accum_offset 32
		.amdhsa_reserve_vcc 1
		.amdhsa_reserve_flat_scratch 0
		.amdhsa_float_round_mode_32 0
		.amdhsa_float_round_mode_16_64 0
		.amdhsa_float_denorm_mode_32 3
		.amdhsa_float_denorm_mode_16_64 3
		.amdhsa_dx10_clamp 1
		.amdhsa_ieee_mode 1
		.amdhsa_fp16_overflow 0
		.amdhsa_tg_split 0
		.amdhsa_exception_fp_ieee_invalid_op 0
		.amdhsa_exception_fp_denorm_src 0
		.amdhsa_exception_fp_ieee_div_zero 0
		.amdhsa_exception_fp_ieee_overflow 0
		.amdhsa_exception_fp_ieee_underflow 0
		.amdhsa_exception_fp_ieee_inexact 0
		.amdhsa_exception_int_div_zero 0
	.end_amdhsa_kernel
	.section	.text._ZN4vllm24merge_attn_states_kernelIttLj128ELb0EEEvPT0_PfPKT_PKfS6_S8_jjjjjjS8_,"axG",@progbits,_ZN4vllm24merge_attn_states_kernelIttLj128ELb0EEEvPT0_PfPKT_PKfS6_S8_jjjjjjS8_,comdat
.Lfunc_end5:
	.size	_ZN4vllm24merge_attn_states_kernelIttLj128ELb0EEEvPT0_PfPKT_PKfS6_S8_jjjjjjS8_, .Lfunc_end5-_ZN4vllm24merge_attn_states_kernelIttLj128ELb0EEEvPT0_PfPKT_PKfS6_S8_jjjjjjS8_
                                        ; -- End function
	.section	.AMDGPU.csdata,"",@progbits
; Kernel info:
; codeLenInByte = 1780
; NumSgprs: 26
; NumVgprs: 29
; NumAgprs: 0
; TotalNumVgprs: 29
; ScratchSize: 0
; MemoryBound: 1
; FloatMode: 240
; IeeeMode: 1
; LDSByteSize: 0 bytes/workgroup (compile time only)
; SGPRBlocks: 3
; VGPRBlocks: 3
; NumSGPRsForWavesPerEU: 26
; NumVGPRsForWavesPerEU: 29
; AccumOffset: 32
; Occupancy: 8
; WaveLimiterHint : 0
; COMPUTE_PGM_RSRC2:SCRATCH_EN: 0
; COMPUTE_PGM_RSRC2:USER_SGPR: 6
; COMPUTE_PGM_RSRC2:TRAP_HANDLER: 0
; COMPUTE_PGM_RSRC2:TGID_X_EN: 1
; COMPUTE_PGM_RSRC2:TGID_Y_EN: 0
; COMPUTE_PGM_RSRC2:TGID_Z_EN: 0
; COMPUTE_PGM_RSRC2:TIDIG_COMP_CNT: 0
; COMPUTE_PGM_RSRC3_GFX90A:ACCUM_OFFSET: 7
; COMPUTE_PGM_RSRC3_GFX90A:TG_SPLIT: 0
	.section	.text._ZN4vllm24merge_attn_states_kernelI14__hip_bfloat16N3c1013Float8_e4m3fnELj128ELb1EEEvPT0_PfPKT_PKfS9_SB_jjjjjjSB_,"axG",@progbits,_ZN4vllm24merge_attn_states_kernelI14__hip_bfloat16N3c1013Float8_e4m3fnELj128ELb1EEEvPT0_PfPKT_PKfS9_SB_jjjjjjSB_,comdat
	.protected	_ZN4vllm24merge_attn_states_kernelI14__hip_bfloat16N3c1013Float8_e4m3fnELj128ELb1EEEvPT0_PfPKT_PKfS9_SB_jjjjjjSB_ ; -- Begin function _ZN4vllm24merge_attn_states_kernelI14__hip_bfloat16N3c1013Float8_e4m3fnELj128ELb1EEEvPT0_PfPKT_PKfS9_SB_jjjjjjSB_
	.globl	_ZN4vllm24merge_attn_states_kernelI14__hip_bfloat16N3c1013Float8_e4m3fnELj128ELb1EEEvPT0_PfPKT_PKfS9_SB_jjjjjjSB_
	.p2align	8
	.type	_ZN4vllm24merge_attn_states_kernelI14__hip_bfloat16N3c1013Float8_e4m3fnELj128ELb1EEEvPT0_PfPKT_PKfS9_SB_jjjjjjSB_,@function
_ZN4vllm24merge_attn_states_kernelI14__hip_bfloat16N3c1013Float8_e4m3fnELj128ELb1EEEvPT0_PfPKT_PKfS9_SB_jjjjjjSB_: ; @_ZN4vllm24merge_attn_states_kernelI14__hip_bfloat16N3c1013Float8_e4m3fnELj128ELb1EEEvPT0_PfPKT_PKfS9_SB_jjjjjjSB_
; %bb.0:
	s_load_dwordx4 s[16:19], s[4:5], 0x30
	v_lshl_add_u32 v0, s6, 7, v0
	s_waitcnt lgkmcnt(0)
	s_lshr_b32 s6, s18, 3
	s_mul_i32 s0, s17, s16
	s_mul_i32 s0, s0, s6
	v_cmp_gt_u32_e32 vcc, s0, v0
	s_and_saveexec_b64 s[0:1], vcc
	s_cbranch_execz .LBB6_403
; %bb.1:
	v_cvt_f32_u32_e32 v1, s6
	s_load_dwordx8 s[8:15], s[4:5], 0x0
	v_cvt_f32_u32_e32 v2, s17
	s_load_dwordx4 s[20:23], s[4:5], 0x40
	s_load_dwordx4 s[0:3], s[4:5], 0x20
	v_rcp_iflag_f32_e32 v1, v1
	s_sub_i32 s4, 0, s6
	v_rcp_iflag_f32_e32 v2, v2
	s_waitcnt lgkmcnt(0)
	v_mov_b32_e32 v9, s9
	v_mul_f32_e32 v1, 0x4f7ffffe, v1
	v_cvt_u32_f32_e32 v1, v1
	v_mul_f32_e32 v2, 0x4f7ffffe, v2
	v_cvt_u32_f32_e32 v2, v2
	v_mul_lo_u32 v3, s4, v1
	v_mul_hi_u32 v3, v1, v3
	v_add_u32_e32 v1, v1, v3
	v_mul_hi_u32 v1, v0, v1
	v_mul_lo_u32 v3, v1, s6
	v_sub_u32_e32 v3, v0, v3
	v_add_u32_e32 v4, 1, v1
	v_cmp_le_u32_e32 vcc, s6, v3
	v_cndmask_b32_e32 v1, v1, v4, vcc
	v_subrev_u32_e32 v4, s6, v3
	v_cndmask_b32_e32 v3, v3, v4, vcc
	v_add_u32_e32 v4, 1, v1
	v_cmp_le_u32_e32 vcc, s6, v3
	v_cndmask_b32_e32 v1, v1, v4, vcc
	v_mul_lo_u32 v3, v1, s6
	s_sub_i32 s4, 0, s17
	v_sub_u32_e32 v8, v0, v3
	v_mul_lo_u32 v0, s4, v2
	v_mul_hi_u32 v0, v2, v0
	v_add_u32_e32 v0, v2, v0
	v_mul_hi_u32 v0, v1, v0
	v_mul_lo_u32 v2, v0, s17
	v_sub_u32_e32 v2, v1, v2
	v_add_u32_e32 v3, 1, v0
	v_cmp_le_u32_e32 vcc, s17, v2
	v_cndmask_b32_e32 v0, v0, v3, vcc
	v_subrev_u32_e32 v3, s17, v2
	v_cndmask_b32_e32 v2, v2, v3, vcc
	v_add_u32_e32 v3, 1, v0
	v_cmp_le_u32_e32 vcc, s17, v2
	s_load_dword s4, s[22:23], 0x0
	v_cndmask_b32_e32 v4, v0, v3, vcc
	v_mul_lo_u32 v0, v4, s17
	v_sub_u32_e32 v5, v1, v0
	v_mul_lo_u32 v0, v1, s19
	v_mul_lo_u32 v7, v1, s20
	v_mov_b32_e32 v1, 0
	v_lshlrev_b64 v[0:1], 1, v[0:1]
	v_mov_b32_e32 v3, s1
	v_add_co_u32_e32 v2, vcc, s0, v0
	s_waitcnt lgkmcnt(0)
	v_div_scale_f32 v10, s[0:1], s4, s4, 1.0
	v_rcp_f32_e32 v11, v10
	v_addc_co_u32_e32 v3, vcc, v3, v1, vcc
	v_add_co_u32_e32 v30, vcc, s8, v7
	v_addc_co_u32_e32 v31, vcc, 0, v9, vcc
	v_fma_f32 v7, -v10, v11, 1.0
	v_fmac_f32_e32 v11, v7, v11
	v_div_scale_f32 v7, vcc, 1.0, s4, 1.0
	v_mul_f32_e32 v9, v7, v11
	v_fma_f32 v12, -v10, v9, v7
	v_fmac_f32_e32 v9, v12, v11
	v_fma_f32 v7, -v10, v9, v7
	v_div_fmas_f32 v7, v7, v11, v9
	v_lshlrev_b32_e32 v6, 3, v8
	v_div_fixup_f32 v32, v7, s4, 1.0
	v_cmp_le_u32_e32 vcc, s21, v4
	s_and_saveexec_b64 s[0:1], vcc
	s_xor_b64 s[4:5], exec, s[0:1]
	s_cbranch_execz .LBB6_135
; %bb.2:
	v_cmp_gt_u32_e32 vcc, s18, v6
	s_and_saveexec_b64 s[6:7], vcc
	s_cbranch_execz .LBB6_132
; %bb.3:
	v_mov_b32_e32 v9, 0
	v_lshlrev_b64 v[0:1], 4, v[8:9]
	v_add_co_u32_e32 v0, vcc, v2, v0
	v_addc_co_u32_e32 v1, vcc, v3, v1, vcc
	global_load_dwordx4 v[0:3], v[0:1], off
	s_movk_i32 s8, 0x80
	s_mov_b64 s[0:1], 0x7f800000
	v_mov_b32_e32 v15, v9
	v_mov_b32_e32 v13, v9
	s_waitcnt vmcnt(0)
	v_lshlrev_b32_e32 v6, 16, v0
	v_mul_f32_e32 v6, v32, v6
	v_min_f32_e32 v6, 0x43e00000, v6
	v_max_f32_e32 v11, 0xc3e00000, v6
	v_and_b32_sdwa v10, v11, s8 dst_sel:DWORD dst_unused:UNUSED_PAD src0_sel:BYTE_3 src1_sel:DWORD
	v_and_b32_e32 v14, 0x7f800000, v11
	v_and_b32_e32 v12, 0x7fffff, v11
	v_or_b32_e32 v6, 0x7e, v10
	v_cmp_ne_u64_e32 vcc, s[0:1], v[14:15]
	s_and_saveexec_b64 s[0:1], vcc
	s_xor_b64 s[8:9], exec, s[0:1]
	s_cbranch_execz .LBB6_17
; %bb.4:
	v_and_b32_e32 v14, 0x7fffffff, v11
	v_mov_b32_e32 v15, v9
	s_mov_b64 s[0:1], 0x43e00001
	v_cmp_gt_u64_e32 vcc, s[0:1], v[14:15]
	s_and_saveexec_b64 s[0:1], vcc
	s_xor_b64 s[20:21], exec, s[0:1]
	s_cbranch_execz .LBB6_16
; %bb.5:
	v_cmp_ne_u32_e32 vcc, 0, v11
	v_pk_mov_b32 v[6:7], 0, 0
	s_and_saveexec_b64 s[22:23], vcc
	s_cbranch_execz .LBB6_15
; %bb.6:
	v_bfe_u32 v6, v11, 23, 8
	s_movk_i32 s0, 0x79
	v_sub_u32_e64 v7, s0, v6 clamp
	v_mov_b32_e32 v14, 0x78
	v_cmp_eq_u32_e32 vcc, 0, v6
	v_cndmask_b32_e32 v17, v7, v14, vcc
	v_add_u32_e32 v16, 0xffffff88, v6
	v_add_u32_e32 v6, 20, v17
	v_or_b32_e32 v11, 0x800000, v12
	v_lshlrev_b64 v[6:7], v6, -1
	v_cndmask_b32_e32 v12, v11, v12, vcc
	v_not_b32_e32 v7, v7
	v_not_b32_e32 v6, v6
	v_add_u32_e32 v11, 19, v17
	v_and_b32_e32 v7, 0, v7
	v_and_b32_e32 v6, v12, v6
	v_lshlrev_b64 v[14:15], v11, 1
	v_cmp_eq_u64_e64 s[0:1], v[6:7], v[14:15]
	v_lshrrev_b64 v[6:7], v17, v[12:13]
	v_mov_b32_e32 v11, 0xffffff89
	v_cndmask_b32_e32 v11, v16, v11, vcc
	v_lshrrev_b32_e32 v12, 23, v6
	v_add3_u32 v14, v11, v17, v12
	v_and_b32_e32 v12, 0x100000, v6
	v_mov_b32_e32 v13, 0
	v_cmp_eq_u64_e32 vcc, 0, v[12:13]
	s_and_b64 vcc, vcc, s[0:1]
	v_subbrev_co_u32_e32 v11, vcc, 0, v6, vcc
	v_and_b32_e32 v11, 0xfffff, v11
	v_add_co_u32_e32 v6, vcc, v11, v6
	v_add_u32_e32 v15, -1, v14
	v_addc_co_u32_e32 v7, vcc, 0, v7, vcc
	v_cmp_ne_u32_e32 vcc, 0, v15
                                        ; implicit-def: $vgpr11
	s_and_saveexec_b64 s[0:1], vcc
	s_xor_b64 s[0:1], exec, s[0:1]
; %bb.7:
	v_and_b32_e32 v12, 0x1000000, v6
	v_cmp_eq_u64_e32 vcc, 0, v[12:13]
	v_bfe_u32 v12, v6, 24, 1
	v_cndmask_b32_e32 v11, v14, v15, vcc
	v_lshrrev_b64 v[6:7], v12, v[6:7]
; %bb.8:
	s_andn2_saveexec_b64 s[0:1], s[0:1]
; %bb.9:
	v_bfe_u32 v11, v6, 23, 1
; %bb.10:
	s_or_b64 exec, exec, s[0:1]
	v_lshrrev_b64 v[6:7], 20, v[6:7]
	v_cmp_gt_i32_e32 vcc, 16, v11
	v_cndmask_b32_e32 v13, 0, v7, vcc
	v_cndmask_b32_e32 v12, 7, v6, vcc
	v_cmp_ne_u32_e32 vcc, 0, v11
	v_cmp_ne_u64_e64 s[0:1], 0, v[12:13]
	s_or_b64 s[0:1], vcc, s[0:1]
                                        ; implicit-def: $vgpr6_vgpr7
	s_and_saveexec_b64 s[24:25], s[0:1]
	s_xor_b64 s[0:1], exec, s[24:25]
; %bb.11:
	v_min_i32_e32 v6, 15, v11
	v_lshl_or_b32 v6, v6, 3, v10
	v_and_or_b32 v6, v12, 7, v6
                                        ; implicit-def: $vgpr10
; %bb.12:
	s_andn2_saveexec_b64 s[0:1], s[0:1]
; %bb.13:
	v_pk_mov_b32 v[6:7], v[10:11], v[10:11] op_sel:[0,1]
; %bb.14:
	s_or_b64 exec, exec, s[0:1]
.LBB6_15:
	s_or_b64 exec, exec, s[22:23]
.LBB6_16:
	s_andn2_saveexec_b64 s[0:1], s[20:21]
	s_or_b64 exec, exec, s[0:1]
                                        ; implicit-def: $vgpr11
                                        ; implicit-def: $vgpr12_vgpr13
.LBB6_17:
	s_andn2_saveexec_b64 s[0:1], s[8:9]
; %bb.18:
	s_movk_i32 s8, 0x7f
	v_or_b32_sdwa v7, v11, s8 dst_sel:DWORD dst_unused:UNUSED_PAD src0_sel:BYTE_3 src1_sel:DWORD
	v_cmp_eq_u64_e32 vcc, 0, v[12:13]
	v_cndmask_b32_e32 v6, v7, v6, vcc
; %bb.19:
	s_or_b64 exec, exec, s[0:1]
	v_and_b32_e32 v0, 0xffff0000, v0
	v_mul_f32_e32 v0, v32, v0
	v_min_f32_e32 v0, 0x43e00000, v0
	v_max_f32_e32 v7, 0xc3e00000, v0
	v_mov_b32_e32 v13, 0
	s_movk_i32 s0, 0x80
	v_and_b32_sdwa v0, v7, s0 dst_sel:DWORD dst_unused:UNUSED_PAD src0_sel:BYTE_3 src1_sel:DWORD
	v_and_b32_e32 v14, 0x7f800000, v7
	v_mov_b32_e32 v15, v13
	s_mov_b64 s[0:1], 0x7f800000
	v_and_b32_e32 v12, 0x7fffff, v7
	v_or_b32_e32 v10, 0x7e, v0
	v_cmp_ne_u64_e32 vcc, s[0:1], v[14:15]
	s_and_saveexec_b64 s[0:1], vcc
	s_xor_b64 s[8:9], exec, s[0:1]
	s_cbranch_execz .LBB6_33
; %bb.20:
	v_and_b32_e32 v14, 0x7fffffff, v7
	v_mov_b32_e32 v15, v13
	s_mov_b64 s[0:1], 0x43e00001
	v_cmp_gt_u64_e32 vcc, s[0:1], v[14:15]
	s_and_saveexec_b64 s[0:1], vcc
	s_xor_b64 s[20:21], exec, s[0:1]
	s_cbranch_execz .LBB6_32
; %bb.21:
	v_cmp_ne_u32_e32 vcc, 0, v7
	v_pk_mov_b32 v[10:11], 0, 0
	s_and_saveexec_b64 s[22:23], vcc
	s_cbranch_execz .LBB6_31
; %bb.22:
	v_bfe_u32 v7, v7, 23, 8
	s_movk_i32 s0, 0x79
	v_sub_u32_e64 v10, s0, v7 clamp
	v_mov_b32_e32 v14, 0x78
	v_cmp_eq_u32_e32 vcc, 0, v7
	v_add_u32_e32 v16, 0xffffff88, v7
	v_cndmask_b32_e32 v7, v10, v14, vcc
	v_or_b32_e32 v11, 0x800000, v12
	v_add_u32_e32 v10, 20, v7
	v_cndmask_b32_e32 v12, v11, v12, vcc
	v_lshlrev_b64 v[10:11], v10, -1
	v_not_b32_e32 v11, v11
	v_not_b32_e32 v10, v10
	v_add_u32_e32 v14, 19, v7
	v_and_b32_e32 v11, 0, v11
	v_and_b32_e32 v10, v12, v10
	v_lshlrev_b64 v[14:15], v14, 1
	v_cmp_eq_u64_e64 s[0:1], v[10:11], v[14:15]
	v_lshrrev_b64 v[10:11], v7, v[12:13]
	v_mov_b32_e32 v12, 0xffffff89
	v_cndmask_b32_e32 v12, v16, v12, vcc
	v_lshrrev_b32_e32 v13, 23, v10
	v_add3_u32 v14, v12, v7, v13
	v_and_b32_e32 v12, 0x100000, v10
	v_mov_b32_e32 v13, 0
	v_cmp_eq_u64_e32 vcc, 0, v[12:13]
	s_and_b64 vcc, vcc, s[0:1]
	v_subbrev_co_u32_e32 v7, vcc, 0, v10, vcc
	v_and_b32_e32 v7, 0xfffff, v7
	v_add_co_u32_e32 v10, vcc, v7, v10
	v_add_u32_e32 v15, -1, v14
	v_addc_co_u32_e32 v11, vcc, 0, v11, vcc
	v_cmp_ne_u32_e32 vcc, 0, v15
                                        ; implicit-def: $vgpr7
	s_and_saveexec_b64 s[0:1], vcc
	s_xor_b64 s[0:1], exec, s[0:1]
; %bb.23:
	v_and_b32_e32 v12, 0x1000000, v10
	v_cmp_eq_u64_e32 vcc, 0, v[12:13]
	v_bfe_u32 v12, v10, 24, 1
	v_cndmask_b32_e32 v7, v14, v15, vcc
	v_lshrrev_b64 v[10:11], v12, v[10:11]
; %bb.24:
	s_andn2_saveexec_b64 s[0:1], s[0:1]
; %bb.25:
	v_bfe_u32 v7, v10, 23, 1
; %bb.26:
	s_or_b64 exec, exec, s[0:1]
	v_lshrrev_b64 v[10:11], 20, v[10:11]
	v_cmp_gt_i32_e32 vcc, 16, v7
	v_cndmask_b32_e32 v13, 0, v11, vcc
	v_cndmask_b32_e32 v12, 7, v10, vcc
	v_cmp_ne_u32_e32 vcc, 0, v7
	v_cmp_ne_u64_e64 s[0:1], 0, v[12:13]
	s_or_b64 s[0:1], vcc, s[0:1]
                                        ; implicit-def: $vgpr10_vgpr11
	s_and_saveexec_b64 s[24:25], s[0:1]
	s_xor_b64 s[0:1], exec, s[24:25]
; %bb.27:
	v_min_i32_e32 v7, 15, v7
	v_lshl_or_b32 v0, v7, 3, v0
	v_and_or_b32 v10, v12, 7, v0
                                        ; implicit-def: $vgpr0
; %bb.28:
	s_andn2_saveexec_b64 s[0:1], s[0:1]
; %bb.29:
	v_pk_mov_b32 v[10:11], v[0:1], v[0:1] op_sel:[0,1]
; %bb.30:
	s_or_b64 exec, exec, s[0:1]
.LBB6_31:
	s_or_b64 exec, exec, s[22:23]
.LBB6_32:
	s_andn2_saveexec_b64 s[0:1], s[20:21]
	s_or_b64 exec, exec, s[0:1]
                                        ; implicit-def: $vgpr7
                                        ; implicit-def: $vgpr12_vgpr13
.LBB6_33:
	s_andn2_saveexec_b64 s[0:1], s[8:9]
; %bb.34:
	s_movk_i32 s8, 0x7f
	v_or_b32_sdwa v0, v7, s8 dst_sel:DWORD dst_unused:UNUSED_PAD src0_sel:BYTE_3 src1_sel:DWORD
	v_cmp_eq_u64_e32 vcc, 0, v[12:13]
	v_cndmask_b32_e32 v10, v0, v10, vcc
; %bb.35:
	s_or_b64 exec, exec, s[0:1]
	v_lshlrev_b32_e32 v0, 16, v1
	v_mul_f32_e32 v0, v32, v0
	v_min_f32_e32 v0, 0x43e00000, v0
	v_max_f32_e32 v7, 0xc3e00000, v0
	v_mov_b32_e32 v15, 0
	s_movk_i32 s0, 0x80
	v_and_b32_sdwa v0, v7, s0 dst_sel:DWORD dst_unused:UNUSED_PAD src0_sel:BYTE_3 src1_sel:DWORD
	v_and_b32_e32 v16, 0x7f800000, v7
	v_mov_b32_e32 v17, v15
	s_mov_b64 s[0:1], 0x7f800000
	v_and_b32_e32 v14, 0x7fffff, v7
	v_or_b32_e32 v12, 0x7e, v0
	v_cmp_ne_u64_e32 vcc, s[0:1], v[16:17]
	s_and_saveexec_b64 s[0:1], vcc
	s_xor_b64 s[8:9], exec, s[0:1]
	s_cbranch_execz .LBB6_49
; %bb.36:
	v_and_b32_e32 v16, 0x7fffffff, v7
	v_mov_b32_e32 v17, v15
	s_mov_b64 s[0:1], 0x43e00001
	v_cmp_gt_u64_e32 vcc, s[0:1], v[16:17]
	s_and_saveexec_b64 s[0:1], vcc
	s_xor_b64 s[20:21], exec, s[0:1]
	s_cbranch_execz .LBB6_48
; %bb.37:
	v_cmp_ne_u32_e32 vcc, 0, v7
	v_pk_mov_b32 v[12:13], 0, 0
	s_and_saveexec_b64 s[22:23], vcc
	s_cbranch_execz .LBB6_47
; %bb.38:
	v_bfe_u32 v7, v7, 23, 8
	s_movk_i32 s0, 0x79
	v_sub_u32_e64 v11, s0, v7 clamp
	v_mov_b32_e32 v13, 0x78
	v_cmp_eq_u32_e32 vcc, 0, v7
	v_add_u32_e32 v18, 0xffffff88, v7
	v_cndmask_b32_e32 v7, v11, v13, vcc
	v_or_b32_e32 v12, 0x800000, v14
	v_add_u32_e32 v11, 20, v7
	v_cndmask_b32_e32 v14, v12, v14, vcc
	v_lshlrev_b64 v[12:13], v11, -1
	v_not_b32_e32 v11, v13
	v_not_b32_e32 v12, v12
	v_and_b32_e32 v13, 0, v11
	v_add_u32_e32 v11, 19, v7
	v_and_b32_e32 v12, v14, v12
	v_lshlrev_b64 v[16:17], v11, 1
	v_cmp_eq_u64_e64 s[0:1], v[12:13], v[16:17]
	v_lshrrev_b64 v[12:13], v7, v[14:15]
	v_mov_b32_e32 v11, 0xffffff89
	v_cndmask_b32_e32 v11, v18, v11, vcc
	v_lshrrev_b32_e32 v14, 23, v12
	v_add3_u32 v11, v11, v7, v14
	v_and_b32_e32 v14, 0x100000, v12
	v_mov_b32_e32 v15, 0
	v_cmp_eq_u64_e32 vcc, 0, v[14:15]
	s_and_b64 vcc, vcc, s[0:1]
	v_subbrev_co_u32_e32 v7, vcc, 0, v12, vcc
	v_and_b32_e32 v7, 0xfffff, v7
	v_add_co_u32_e32 v12, vcc, v7, v12
	v_add_u32_e32 v16, -1, v11
	v_addc_co_u32_e32 v13, vcc, 0, v13, vcc
	v_cmp_ne_u32_e32 vcc, 0, v16
                                        ; implicit-def: $vgpr7
	s_and_saveexec_b64 s[0:1], vcc
	s_xor_b64 s[0:1], exec, s[0:1]
; %bb.39:
	v_and_b32_e32 v14, 0x1000000, v12
	v_cmp_eq_u64_e32 vcc, 0, v[14:15]
	v_cndmask_b32_e32 v7, v11, v16, vcc
	v_bfe_u32 v11, v12, 24, 1
	v_lshrrev_b64 v[12:13], v11, v[12:13]
; %bb.40:
	s_andn2_saveexec_b64 s[0:1], s[0:1]
; %bb.41:
	v_bfe_u32 v7, v12, 23, 1
; %bb.42:
	s_or_b64 exec, exec, s[0:1]
	v_lshrrev_b64 v[12:13], 20, v[12:13]
	v_cmp_gt_i32_e32 vcc, 16, v7
	v_cndmask_b32_e32 v15, 0, v13, vcc
	v_cndmask_b32_e32 v14, 7, v12, vcc
	v_cmp_ne_u32_e32 vcc, 0, v7
	v_cmp_ne_u64_e64 s[0:1], 0, v[14:15]
	s_or_b64 s[0:1], vcc, s[0:1]
                                        ; implicit-def: $vgpr12_vgpr13
	s_and_saveexec_b64 s[24:25], s[0:1]
	s_xor_b64 s[0:1], exec, s[24:25]
; %bb.43:
	v_min_i32_e32 v7, 15, v7
	v_lshl_or_b32 v0, v7, 3, v0
	v_and_or_b32 v12, v14, 7, v0
                                        ; implicit-def: $vgpr0
; %bb.44:
	s_andn2_saveexec_b64 s[0:1], s[0:1]
; %bb.45:
	v_pk_mov_b32 v[12:13], v[0:1], v[0:1] op_sel:[0,1]
; %bb.46:
	s_or_b64 exec, exec, s[0:1]
.LBB6_47:
	s_or_b64 exec, exec, s[22:23]
.LBB6_48:
	s_andn2_saveexec_b64 s[0:1], s[20:21]
	s_or_b64 exec, exec, s[0:1]
                                        ; implicit-def: $vgpr7
                                        ; implicit-def: $vgpr14_vgpr15
.LBB6_49:
	s_andn2_saveexec_b64 s[0:1], s[8:9]
; %bb.50:
	s_movk_i32 s8, 0x7f
	v_or_b32_sdwa v0, v7, s8 dst_sel:DWORD dst_unused:UNUSED_PAD src0_sel:BYTE_3 src1_sel:DWORD
	v_cmp_eq_u64_e32 vcc, 0, v[14:15]
	v_cndmask_b32_e32 v12, v0, v12, vcc
; %bb.51:
	s_or_b64 exec, exec, s[0:1]
	v_and_b32_e32 v0, 0xffff0000, v1
	v_mul_f32_e32 v0, v32, v0
	v_min_f32_e32 v0, 0x43e00000, v0
	v_max_f32_e32 v7, 0xc3e00000, v0
	v_mov_b32_e32 v17, 0
	s_movk_i32 s0, 0x80
	v_and_b32_sdwa v14, v7, s0 dst_sel:DWORD dst_unused:UNUSED_PAD src0_sel:BYTE_3 src1_sel:DWORD
	v_and_b32_e32 v18, 0x7f800000, v7
	v_mov_b32_e32 v19, v17
	s_mov_b64 s[0:1], 0x7f800000
	v_and_b32_e32 v16, 0x7fffff, v7
	v_or_b32_e32 v0, 0x7e, v14
	v_cmp_ne_u64_e32 vcc, s[0:1], v[18:19]
	s_and_saveexec_b64 s[0:1], vcc
	s_xor_b64 s[8:9], exec, s[0:1]
	s_cbranch_execz .LBB6_65
; %bb.52:
	v_and_b32_e32 v18, 0x7fffffff, v7
	v_mov_b32_e32 v19, v17
	s_mov_b64 s[0:1], 0x43e00001
	v_cmp_gt_u64_e32 vcc, s[0:1], v[18:19]
	s_and_saveexec_b64 s[0:1], vcc
	s_xor_b64 s[20:21], exec, s[0:1]
	s_cbranch_execz .LBB6_64
; %bb.53:
	v_cmp_ne_u32_e32 vcc, 0, v7
	v_pk_mov_b32 v[0:1], 0, 0
	s_and_saveexec_b64 s[22:23], vcc
	s_cbranch_execz .LBB6_63
; %bb.54:
	v_bfe_u32 v0, v7, 23, 8
	s_movk_i32 s0, 0x79
	v_sub_u32_e64 v1, s0, v0 clamp
	v_mov_b32_e32 v13, 0x78
	v_cmp_eq_u32_e32 vcc, 0, v0
	v_cndmask_b32_e32 v13, v1, v13, vcc
	v_add_u32_e32 v11, 0xffffff88, v0
	v_add_u32_e32 v0, 20, v13
	v_or_b32_e32 v7, 0x800000, v16
	v_lshlrev_b64 v[0:1], v0, -1
	v_cndmask_b32_e32 v16, v7, v16, vcc
	v_not_b32_e32 v1, v1
	v_not_b32_e32 v0, v0
	v_add_u32_e32 v7, 19, v13
	v_and_b32_e32 v1, 0, v1
	v_and_b32_e32 v0, v16, v0
	v_lshlrev_b64 v[18:19], v7, 1
	v_cmp_eq_u64_e64 s[0:1], v[0:1], v[18:19]
	v_lshrrev_b64 v[0:1], v13, v[16:17]
	v_mov_b32_e32 v7, 0xffffff89
	v_and_b32_e32 v16, 0x100000, v0
	v_mov_b32_e32 v17, 0
	v_cndmask_b32_e32 v7, v11, v7, vcc
	v_cmp_eq_u64_e32 vcc, 0, v[16:17]
	v_lshrrev_b32_e32 v11, 23, v0
	s_and_b64 vcc, vcc, s[0:1]
	v_add3_u32 v11, v7, v13, v11
	v_subbrev_co_u32_e32 v7, vcc, 0, v0, vcc
	v_and_b32_e32 v7, 0xfffff, v7
	v_add_co_u32_e32 v0, vcc, v7, v0
	v_add_u32_e32 v13, -1, v11
	v_addc_co_u32_e32 v1, vcc, 0, v1, vcc
	v_cmp_ne_u32_e32 vcc, 0, v13
                                        ; implicit-def: $vgpr7
	s_and_saveexec_b64 s[0:1], vcc
	s_xor_b64 s[0:1], exec, s[0:1]
; %bb.55:
	v_and_b32_e32 v16, 0x1000000, v0
	v_cmp_eq_u64_e32 vcc, 0, v[16:17]
	v_cndmask_b32_e32 v7, v11, v13, vcc
	v_bfe_u32 v11, v0, 24, 1
	v_lshrrev_b64 v[0:1], v11, v[0:1]
; %bb.56:
	s_andn2_saveexec_b64 s[0:1], s[0:1]
; %bb.57:
	v_bfe_u32 v7, v0, 23, 1
; %bb.58:
	s_or_b64 exec, exec, s[0:1]
	v_lshrrev_b64 v[0:1], 20, v[0:1]
	v_cmp_gt_i32_e32 vcc, 16, v7
	v_cndmask_b32_e32 v17, 0, v1, vcc
	v_cndmask_b32_e32 v16, 7, v0, vcc
	v_cmp_ne_u32_e32 vcc, 0, v7
	v_cmp_ne_u64_e64 s[0:1], 0, v[16:17]
	s_or_b64 s[0:1], vcc, s[0:1]
                                        ; implicit-def: $vgpr0_vgpr1
	s_and_saveexec_b64 s[24:25], s[0:1]
	s_xor_b64 s[0:1], exec, s[24:25]
; %bb.59:
	v_min_i32_e32 v0, 15, v7
	v_lshl_or_b32 v0, v0, 3, v14
	v_and_or_b32 v0, v16, 7, v0
                                        ; implicit-def: $vgpr14
; %bb.60:
	s_andn2_saveexec_b64 s[0:1], s[0:1]
; %bb.61:
	v_pk_mov_b32 v[0:1], v[14:15], v[14:15] op_sel:[0,1]
; %bb.62:
	s_or_b64 exec, exec, s[0:1]
.LBB6_63:
	s_or_b64 exec, exec, s[22:23]
.LBB6_64:
	s_andn2_saveexec_b64 s[0:1], s[20:21]
	s_or_b64 exec, exec, s[0:1]
                                        ; implicit-def: $vgpr7
                                        ; implicit-def: $vgpr16_vgpr17
.LBB6_65:
	s_andn2_saveexec_b64 s[0:1], s[8:9]
; %bb.66:
	s_movk_i32 s8, 0x7f
	v_or_b32_sdwa v1, v7, s8 dst_sel:DWORD dst_unused:UNUSED_PAD src0_sel:BYTE_3 src1_sel:DWORD
	v_cmp_eq_u64_e32 vcc, 0, v[16:17]
	v_cndmask_b32_e32 v0, v1, v0, vcc
; %bb.67:
	s_or_b64 exec, exec, s[0:1]
	v_lshlrev_b32_e32 v1, 16, v2
	v_mul_f32_e32 v1, v32, v1
	v_min_f32_e32 v1, 0x43e00000, v1
	v_max_f32_e32 v1, 0xc3e00000, v1
	v_mov_b32_e32 v19, 0
	s_movk_i32 s0, 0x80
	v_and_b32_sdwa v16, v1, s0 dst_sel:DWORD dst_unused:UNUSED_PAD src0_sel:BYTE_3 src1_sel:DWORD
	v_and_b32_e32 v20, 0x7f800000, v1
	v_mov_b32_e32 v21, v19
	s_mov_b64 s[0:1], 0x7f800000
	v_and_b32_e32 v18, 0x7fffff, v1
	v_or_b32_e32 v14, 0x7e, v16
	v_cmp_ne_u64_e32 vcc, s[0:1], v[20:21]
	s_and_saveexec_b64 s[0:1], vcc
	s_xor_b64 s[8:9], exec, s[0:1]
	s_cbranch_execz .LBB6_81
; %bb.68:
	v_and_b32_e32 v20, 0x7fffffff, v1
	v_mov_b32_e32 v21, v19
	s_mov_b64 s[0:1], 0x43e00001
	v_cmp_gt_u64_e32 vcc, s[0:1], v[20:21]
	s_and_saveexec_b64 s[0:1], vcc
	s_xor_b64 s[20:21], exec, s[0:1]
	s_cbranch_execz .LBB6_80
; %bb.69:
	v_cmp_ne_u32_e32 vcc, 0, v1
	v_pk_mov_b32 v[14:15], 0, 0
	s_and_saveexec_b64 s[22:23], vcc
	s_cbranch_execz .LBB6_79
; %bb.70:
	v_bfe_u32 v1, v1, 23, 8
	s_movk_i32 s0, 0x79
	v_sub_u32_e64 v7, s0, v1 clamp
	v_mov_b32_e32 v14, 0x78
	v_cmp_eq_u32_e32 vcc, 0, v1
	v_add_u32_e32 v13, 0xffffff88, v1
	v_cndmask_b32_e32 v1, v7, v14, vcc
	v_add_u32_e32 v7, 20, v1
	v_lshlrev_b64 v[14:15], v7, -1
	v_or_b32_e32 v11, 0x800000, v18
	v_not_b32_e32 v7, v15
	v_cndmask_b32_e32 v18, v11, v18, vcc
	v_not_b32_e32 v11, v14
	v_and_b32_e32 v15, 0, v7
	v_add_u32_e32 v7, 19, v1
	v_and_b32_e32 v14, v18, v11
	v_lshlrev_b64 v[20:21], v7, 1
	v_cmp_eq_u64_e64 s[0:1], v[14:15], v[20:21]
	v_lshrrev_b64 v[14:15], v1, v[18:19]
	v_mov_b32_e32 v7, 0xffffff89
	v_and_b32_e32 v18, 0x100000, v14
	v_mov_b32_e32 v19, 0
	v_cndmask_b32_e32 v7, v13, v7, vcc
	v_cmp_eq_u64_e32 vcc, 0, v[18:19]
	v_lshrrev_b32_e32 v11, 23, v14
	s_and_b64 vcc, vcc, s[0:1]
	v_add3_u32 v7, v7, v1, v11
	v_subbrev_co_u32_e32 v1, vcc, 0, v14, vcc
	v_and_b32_e32 v1, 0xfffff, v1
	v_add_co_u32_e32 v14, vcc, v1, v14
	v_add_u32_e32 v11, -1, v7
	v_addc_co_u32_e32 v15, vcc, 0, v15, vcc
	v_cmp_ne_u32_e32 vcc, 0, v11
                                        ; implicit-def: $vgpr1
	s_and_saveexec_b64 s[0:1], vcc
	s_xor_b64 s[0:1], exec, s[0:1]
; %bb.71:
	v_and_b32_e32 v18, 0x1000000, v14
	v_cmp_eq_u64_e32 vcc, 0, v[18:19]
	v_cndmask_b32_e32 v1, v7, v11, vcc
	v_bfe_u32 v7, v14, 24, 1
	v_lshrrev_b64 v[14:15], v7, v[14:15]
; %bb.72:
	s_andn2_saveexec_b64 s[0:1], s[0:1]
; %bb.73:
	v_bfe_u32 v1, v14, 23, 1
; %bb.74:
	s_or_b64 exec, exec, s[0:1]
	v_lshrrev_b64 v[14:15], 20, v[14:15]
	v_cmp_gt_i32_e32 vcc, 16, v1
	v_cndmask_b32_e32 v19, 0, v15, vcc
	v_cndmask_b32_e32 v18, 7, v14, vcc
	v_cmp_ne_u32_e32 vcc, 0, v1
	v_cmp_ne_u64_e64 s[0:1], 0, v[18:19]
	s_or_b64 s[0:1], vcc, s[0:1]
                                        ; implicit-def: $vgpr14_vgpr15
	s_and_saveexec_b64 s[24:25], s[0:1]
	s_xor_b64 s[0:1], exec, s[24:25]
; %bb.75:
	v_min_i32_e32 v1, 15, v1
	v_lshl_or_b32 v1, v1, 3, v16
	v_and_or_b32 v14, v18, 7, v1
                                        ; implicit-def: $vgpr16
; %bb.76:
	s_andn2_saveexec_b64 s[0:1], s[0:1]
; %bb.77:
	v_pk_mov_b32 v[14:15], v[16:17], v[16:17] op_sel:[0,1]
; %bb.78:
	s_or_b64 exec, exec, s[0:1]
.LBB6_79:
	s_or_b64 exec, exec, s[22:23]
.LBB6_80:
	s_andn2_saveexec_b64 s[0:1], s[20:21]
	s_or_b64 exec, exec, s[0:1]
                                        ; implicit-def: $vgpr1
                                        ; implicit-def: $vgpr18_vgpr19
.LBB6_81:
	s_andn2_saveexec_b64 s[0:1], s[8:9]
; %bb.82:
	s_movk_i32 s8, 0x7f
	v_or_b32_sdwa v1, v1, s8 dst_sel:DWORD dst_unused:UNUSED_PAD src0_sel:BYTE_3 src1_sel:DWORD
	v_cmp_eq_u64_e32 vcc, 0, v[18:19]
	v_cndmask_b32_e32 v14, v1, v14, vcc
; %bb.83:
	s_or_b64 exec, exec, s[0:1]
	v_and_b32_e32 v1, 0xffff0000, v2
	v_mul_f32_e32 v1, v32, v1
	v_min_f32_e32 v1, 0x43e00000, v1
	v_max_f32_e32 v1, 0xc3e00000, v1
	v_mov_b32_e32 v19, 0
	s_movk_i32 s0, 0x80
	v_and_b32_sdwa v2, v1, s0 dst_sel:DWORD dst_unused:UNUSED_PAD src0_sel:BYTE_3 src1_sel:DWORD
	v_and_b32_e32 v20, 0x7f800000, v1
	v_mov_b32_e32 v21, v19
	s_mov_b64 s[0:1], 0x7f800000
	v_and_b32_e32 v18, 0x7fffff, v1
	v_or_b32_e32 v16, 0x7e, v2
	v_cmp_ne_u64_e32 vcc, s[0:1], v[20:21]
	s_and_saveexec_b64 s[0:1], vcc
	s_xor_b64 s[8:9], exec, s[0:1]
	s_cbranch_execz .LBB6_97
; %bb.84:
	v_and_b32_e32 v20, 0x7fffffff, v1
	v_mov_b32_e32 v21, v19
	s_mov_b64 s[0:1], 0x43e00001
	v_cmp_gt_u64_e32 vcc, s[0:1], v[20:21]
	s_and_saveexec_b64 s[0:1], vcc
	s_xor_b64 s[20:21], exec, s[0:1]
	s_cbranch_execz .LBB6_96
; %bb.85:
	v_cmp_ne_u32_e32 vcc, 0, v1
	v_pk_mov_b32 v[16:17], 0, 0
	s_and_saveexec_b64 s[22:23], vcc
	s_cbranch_execz .LBB6_95
; %bb.86:
	v_bfe_u32 v1, v1, 23, 8
	s_movk_i32 s0, 0x79
	v_sub_u32_e64 v7, s0, v1 clamp
	v_mov_b32_e32 v15, 0x78
	v_cmp_eq_u32_e32 vcc, 0, v1
	v_add_u32_e32 v13, 0xffffff88, v1
	v_cndmask_b32_e32 v1, v7, v15, vcc
	v_add_u32_e32 v7, 20, v1
	v_lshlrev_b64 v[16:17], v7, -1
	v_or_b32_e32 v11, 0x800000, v18
	v_not_b32_e32 v7, v17
	v_cndmask_b32_e32 v18, v11, v18, vcc
	v_not_b32_e32 v11, v16
	v_and_b32_e32 v17, 0, v7
	v_add_u32_e32 v7, 19, v1
	v_and_b32_e32 v16, v18, v11
	v_lshlrev_b64 v[20:21], v7, 1
	v_cmp_eq_u64_e64 s[0:1], v[16:17], v[20:21]
	v_lshrrev_b64 v[16:17], v1, v[18:19]
	v_mov_b32_e32 v7, 0xffffff89
	v_and_b32_e32 v18, 0x100000, v16
	v_mov_b32_e32 v19, 0
	v_cndmask_b32_e32 v7, v13, v7, vcc
	v_cmp_eq_u64_e32 vcc, 0, v[18:19]
	v_lshrrev_b32_e32 v11, 23, v16
	s_and_b64 vcc, vcc, s[0:1]
	v_add3_u32 v7, v7, v1, v11
	v_subbrev_co_u32_e32 v1, vcc, 0, v16, vcc
	v_and_b32_e32 v1, 0xfffff, v1
	v_add_co_u32_e32 v16, vcc, v1, v16
	v_add_u32_e32 v11, -1, v7
	v_addc_co_u32_e32 v17, vcc, 0, v17, vcc
	v_cmp_ne_u32_e32 vcc, 0, v11
                                        ; implicit-def: $vgpr1
	s_and_saveexec_b64 s[0:1], vcc
	s_xor_b64 s[0:1], exec, s[0:1]
; %bb.87:
	v_and_b32_e32 v18, 0x1000000, v16
	v_cmp_eq_u64_e32 vcc, 0, v[18:19]
	v_cndmask_b32_e32 v1, v7, v11, vcc
	v_bfe_u32 v7, v16, 24, 1
	v_lshrrev_b64 v[16:17], v7, v[16:17]
; %bb.88:
	s_andn2_saveexec_b64 s[0:1], s[0:1]
; %bb.89:
	v_bfe_u32 v1, v16, 23, 1
; %bb.90:
	s_or_b64 exec, exec, s[0:1]
	v_lshrrev_b64 v[16:17], 20, v[16:17]
	v_cmp_gt_i32_e32 vcc, 16, v1
	v_cndmask_b32_e32 v19, 0, v17, vcc
	v_cndmask_b32_e32 v18, 7, v16, vcc
	v_cmp_ne_u32_e32 vcc, 0, v1
	v_cmp_ne_u64_e64 s[0:1], 0, v[18:19]
	s_or_b64 s[0:1], vcc, s[0:1]
                                        ; implicit-def: $vgpr16_vgpr17
	s_and_saveexec_b64 s[24:25], s[0:1]
	s_xor_b64 s[0:1], exec, s[24:25]
; %bb.91:
	v_min_i32_e32 v1, 15, v1
	v_lshl_or_b32 v1, v1, 3, v2
	v_and_or_b32 v16, v18, 7, v1
                                        ; implicit-def: $vgpr2
; %bb.92:
	s_andn2_saveexec_b64 s[0:1], s[0:1]
; %bb.93:
	v_pk_mov_b32 v[16:17], v[2:3], v[2:3] op_sel:[0,1]
; %bb.94:
	s_or_b64 exec, exec, s[0:1]
.LBB6_95:
	s_or_b64 exec, exec, s[22:23]
.LBB6_96:
	s_andn2_saveexec_b64 s[0:1], s[20:21]
	s_or_b64 exec, exec, s[0:1]
                                        ; implicit-def: $vgpr1
                                        ; implicit-def: $vgpr18_vgpr19
.LBB6_97:
	s_andn2_saveexec_b64 s[0:1], s[8:9]
; %bb.98:
	s_movk_i32 s8, 0x7f
	v_or_b32_sdwa v1, v1, s8 dst_sel:DWORD dst_unused:UNUSED_PAD src0_sel:BYTE_3 src1_sel:DWORD
	v_cmp_eq_u64_e32 vcc, 0, v[18:19]
	v_cndmask_b32_e32 v16, v1, v16, vcc
; %bb.99:
	s_or_b64 exec, exec, s[0:1]
	v_lshlrev_b32_e32 v1, 16, v3
	v_mul_f32_e32 v1, v32, v1
	v_min_f32_e32 v1, 0x43e00000, v1
	v_max_f32_e32 v1, 0xc3e00000, v1
	v_mov_b32_e32 v21, 0
	s_movk_i32 s0, 0x80
	v_and_b32_sdwa v2, v1, s0 dst_sel:DWORD dst_unused:UNUSED_PAD src0_sel:BYTE_3 src1_sel:DWORD
	v_and_b32_e32 v22, 0x7f800000, v1
	v_mov_b32_e32 v23, v21
	s_mov_b64 s[0:1], 0x7f800000
	v_and_b32_e32 v20, 0x7fffff, v1
	v_or_b32_e32 v18, 0x7e, v2
	v_cmp_ne_u64_e32 vcc, s[0:1], v[22:23]
	s_and_saveexec_b64 s[0:1], vcc
	s_xor_b64 s[8:9], exec, s[0:1]
	s_cbranch_execz .LBB6_113
; %bb.100:
	v_and_b32_e32 v22, 0x7fffffff, v1
	v_mov_b32_e32 v23, v21
	s_mov_b64 s[0:1], 0x43e00001
	v_cmp_gt_u64_e32 vcc, s[0:1], v[22:23]
	s_and_saveexec_b64 s[0:1], vcc
	s_xor_b64 s[20:21], exec, s[0:1]
	s_cbranch_execz .LBB6_112
; %bb.101:
	v_cmp_ne_u32_e32 vcc, 0, v1
	v_pk_mov_b32 v[18:19], 0, 0
	s_and_saveexec_b64 s[22:23], vcc
	s_cbranch_execz .LBB6_111
; %bb.102:
	v_bfe_u32 v1, v1, 23, 8
	s_movk_i32 s0, 0x79
	v_sub_u32_e64 v7, s0, v1 clamp
	v_mov_b32_e32 v15, 0x78
	v_cmp_eq_u32_e32 vcc, 0, v1
	v_add_u32_e32 v13, 0xffffff88, v1
	v_cndmask_b32_e32 v1, v7, v15, vcc
	v_add_u32_e32 v7, 20, v1
	v_lshlrev_b64 v[18:19], v7, -1
	v_or_b32_e32 v11, 0x800000, v20
	v_not_b32_e32 v7, v19
	v_cndmask_b32_e32 v20, v11, v20, vcc
	v_not_b32_e32 v11, v18
	v_and_b32_e32 v19, 0, v7
	v_add_u32_e32 v7, 19, v1
	v_and_b32_e32 v18, v20, v11
	v_lshlrev_b64 v[22:23], v7, 1
	v_cmp_eq_u64_e64 s[0:1], v[18:19], v[22:23]
	v_lshrrev_b64 v[18:19], v1, v[20:21]
	v_mov_b32_e32 v7, 0xffffff89
	v_and_b32_e32 v20, 0x100000, v18
	v_mov_b32_e32 v21, 0
	v_cndmask_b32_e32 v7, v13, v7, vcc
	v_cmp_eq_u64_e32 vcc, 0, v[20:21]
	v_lshrrev_b32_e32 v11, 23, v18
	s_and_b64 vcc, vcc, s[0:1]
	v_add3_u32 v7, v7, v1, v11
	v_subbrev_co_u32_e32 v1, vcc, 0, v18, vcc
	v_and_b32_e32 v1, 0xfffff, v1
	v_add_co_u32_e32 v18, vcc, v1, v18
	v_add_u32_e32 v11, -1, v7
	v_addc_co_u32_e32 v19, vcc, 0, v19, vcc
	v_cmp_ne_u32_e32 vcc, 0, v11
                                        ; implicit-def: $vgpr1
	s_and_saveexec_b64 s[0:1], vcc
	s_xor_b64 s[0:1], exec, s[0:1]
; %bb.103:
	v_and_b32_e32 v20, 0x1000000, v18
	v_cmp_eq_u64_e32 vcc, 0, v[20:21]
	v_cndmask_b32_e32 v1, v7, v11, vcc
	v_bfe_u32 v7, v18, 24, 1
	v_lshrrev_b64 v[18:19], v7, v[18:19]
; %bb.104:
	s_andn2_saveexec_b64 s[0:1], s[0:1]
; %bb.105:
	v_bfe_u32 v1, v18, 23, 1
; %bb.106:
	s_or_b64 exec, exec, s[0:1]
	v_lshrrev_b64 v[18:19], 20, v[18:19]
	v_cmp_gt_i32_e32 vcc, 16, v1
	v_cndmask_b32_e32 v21, 0, v19, vcc
	v_cndmask_b32_e32 v20, 7, v18, vcc
	v_cmp_ne_u32_e32 vcc, 0, v1
	v_cmp_ne_u64_e64 s[0:1], 0, v[20:21]
	s_or_b64 s[0:1], vcc, s[0:1]
                                        ; implicit-def: $vgpr18_vgpr19
	s_and_saveexec_b64 s[24:25], s[0:1]
	s_xor_b64 s[0:1], exec, s[24:25]
; %bb.107:
	v_min_i32_e32 v1, 15, v1
	v_lshl_or_b32 v1, v1, 3, v2
	v_and_or_b32 v18, v20, 7, v1
                                        ; implicit-def: $vgpr2
; %bb.108:
	s_andn2_saveexec_b64 s[0:1], s[0:1]
; %bb.109:
	v_pk_mov_b32 v[18:19], v[2:3], v[2:3] op_sel:[0,1]
; %bb.110:
	s_or_b64 exec, exec, s[0:1]
.LBB6_111:
	s_or_b64 exec, exec, s[22:23]
.LBB6_112:
	s_andn2_saveexec_b64 s[0:1], s[20:21]
	s_or_b64 exec, exec, s[0:1]
                                        ; implicit-def: $vgpr1
                                        ; implicit-def: $vgpr20_vgpr21
.LBB6_113:
	s_andn2_saveexec_b64 s[0:1], s[8:9]
; %bb.114:
	s_movk_i32 s8, 0x7f
	v_or_b32_sdwa v1, v1, s8 dst_sel:DWORD dst_unused:UNUSED_PAD src0_sel:BYTE_3 src1_sel:DWORD
	v_cmp_eq_u64_e32 vcc, 0, v[20:21]
	v_cndmask_b32_e32 v18, v1, v18, vcc
; %bb.115:
	s_or_b64 exec, exec, s[0:1]
	v_and_b32_e32 v1, 0xffff0000, v3
	v_mul_f32_e32 v1, v32, v1
	v_min_f32_e32 v1, 0x43e00000, v1
	v_max_f32_e32 v1, 0xc3e00000, v1
	v_mov_b32_e32 v23, 0
	s_movk_i32 s0, 0x80
	v_and_b32_sdwa v2, v1, s0 dst_sel:DWORD dst_unused:UNUSED_PAD src0_sel:BYTE_3 src1_sel:DWORD
	v_and_b32_e32 v24, 0x7f800000, v1
	v_mov_b32_e32 v25, v23
	s_mov_b64 s[0:1], 0x7f800000
	v_and_b32_e32 v22, 0x7fffff, v1
	v_or_b32_e32 v20, 0x7e, v2
	v_cmp_ne_u64_e32 vcc, s[0:1], v[24:25]
	s_and_saveexec_b64 s[0:1], vcc
	s_xor_b64 s[8:9], exec, s[0:1]
	s_cbranch_execz .LBB6_129
; %bb.116:
	v_and_b32_e32 v24, 0x7fffffff, v1
	v_mov_b32_e32 v25, v23
	s_mov_b64 s[0:1], 0x43e00001
	v_cmp_gt_u64_e32 vcc, s[0:1], v[24:25]
	s_and_saveexec_b64 s[0:1], vcc
	s_xor_b64 s[20:21], exec, s[0:1]
	s_cbranch_execz .LBB6_128
; %bb.117:
	v_cmp_ne_u32_e32 vcc, 0, v1
	v_pk_mov_b32 v[20:21], 0, 0
	s_and_saveexec_b64 s[22:23], vcc
	s_cbranch_execz .LBB6_127
; %bb.118:
	v_bfe_u32 v1, v1, 23, 8
	s_movk_i32 s0, 0x79
	v_sub_u32_e64 v3, s0, v1 clamp
	v_mov_b32_e32 v13, 0x78
	v_cmp_eq_u32_e32 vcc, 0, v1
	v_add_u32_e32 v11, 0xffffff88, v1
	v_cndmask_b32_e32 v1, v3, v13, vcc
	v_add_u32_e32 v3, 20, v1
	v_lshlrev_b64 v[20:21], v3, -1
	v_or_b32_e32 v7, 0x800000, v22
	v_not_b32_e32 v3, v21
	v_cndmask_b32_e32 v22, v7, v22, vcc
	v_not_b32_e32 v7, v20
	v_and_b32_e32 v21, 0, v3
	v_add_u32_e32 v3, 19, v1
	v_and_b32_e32 v20, v22, v7
	v_lshlrev_b64 v[24:25], v3, 1
	v_cmp_eq_u64_e64 s[0:1], v[20:21], v[24:25]
	v_lshrrev_b64 v[20:21], v1, v[22:23]
	v_mov_b32_e32 v3, 0xffffff89
	v_and_b32_e32 v22, 0x100000, v20
	v_mov_b32_e32 v23, 0
	v_cndmask_b32_e32 v3, v11, v3, vcc
	v_cmp_eq_u64_e32 vcc, 0, v[22:23]
	v_lshrrev_b32_e32 v7, 23, v20
	s_and_b64 vcc, vcc, s[0:1]
	v_add3_u32 v3, v3, v1, v7
	v_subbrev_co_u32_e32 v1, vcc, 0, v20, vcc
	v_and_b32_e32 v1, 0xfffff, v1
	v_add_co_u32_e32 v20, vcc, v1, v20
	v_add_u32_e32 v7, -1, v3
	v_addc_co_u32_e32 v21, vcc, 0, v21, vcc
	v_cmp_ne_u32_e32 vcc, 0, v7
                                        ; implicit-def: $vgpr1
	s_and_saveexec_b64 s[0:1], vcc
	s_xor_b64 s[0:1], exec, s[0:1]
; %bb.119:
	v_and_b32_e32 v22, 0x1000000, v20
	v_cmp_eq_u64_e32 vcc, 0, v[22:23]
	v_cndmask_b32_e32 v1, v3, v7, vcc
	v_bfe_u32 v3, v20, 24, 1
	v_lshrrev_b64 v[20:21], v3, v[20:21]
; %bb.120:
	s_andn2_saveexec_b64 s[0:1], s[0:1]
; %bb.121:
	v_bfe_u32 v1, v20, 23, 1
; %bb.122:
	s_or_b64 exec, exec, s[0:1]
	v_lshrrev_b64 v[20:21], 20, v[20:21]
	v_cmp_gt_i32_e32 vcc, 16, v1
	v_cndmask_b32_e32 v23, 0, v21, vcc
	v_cndmask_b32_e32 v22, 7, v20, vcc
	v_cmp_ne_u32_e32 vcc, 0, v1
	v_cmp_ne_u64_e64 s[0:1], 0, v[22:23]
	s_or_b64 s[0:1], vcc, s[0:1]
                                        ; implicit-def: $vgpr20_vgpr21
	s_and_saveexec_b64 s[24:25], s[0:1]
	s_xor_b64 s[0:1], exec, s[24:25]
; %bb.123:
	v_min_i32_e32 v1, 15, v1
	v_lshl_or_b32 v1, v1, 3, v2
	v_and_or_b32 v20, v22, 7, v1
                                        ; implicit-def: $vgpr2
; %bb.124:
	s_andn2_saveexec_b64 s[0:1], s[0:1]
; %bb.125:
	v_pk_mov_b32 v[20:21], v[2:3], v[2:3] op_sel:[0,1]
; %bb.126:
	s_or_b64 exec, exec, s[0:1]
.LBB6_127:
	s_or_b64 exec, exec, s[22:23]
.LBB6_128:
	s_andn2_saveexec_b64 s[0:1], s[20:21]
	s_or_b64 exec, exec, s[0:1]
                                        ; implicit-def: $vgpr1
                                        ; implicit-def: $vgpr22_vgpr23
.LBB6_129:
	s_andn2_saveexec_b64 s[0:1], s[8:9]
; %bb.130:
	s_movk_i32 s8, 0x7f
	v_or_b32_sdwa v1, v1, s8 dst_sel:DWORD dst_unused:UNUSED_PAD src0_sel:BYTE_3 src1_sel:DWORD
	v_cmp_eq_u64_e32 vcc, 0, v[22:23]
	v_cndmask_b32_e32 v20, v1, v20, vcc
; %bb.131:
	s_or_b64 exec, exec, s[0:1]
	v_lshlrev_b32_e32 v7, 16, v18
	v_lshlrev_b32_e32 v1, 24, v20
	v_and_b32_e32 v7, 0xff0000, v7
	v_or_b32_e32 v1, v1, v7
	v_lshlrev_b32_e32 v7, 8, v16
	v_lshlrev_b64 v[2:3], 3, v[8:9]
	v_and_b32_e32 v7, 0xff00, v7
	v_and_b32_e32 v9, 0xff, v14
	v_or3_b32 v1, v1, v7, v9
	v_lshlrev_b32_e32 v7, 16, v12
	s_mov_b32 s1, 0x4020c0c
	s_mov_b32 s0, 0xff00
	v_lshlrev_b32_e32 v9, 8, v10
	v_perm_b32 v0, v0, v7, s1
	v_add_co_u32_e32 v2, vcc, v30, v2
	v_and_or_b32 v0, v9, s0, v0
	v_addc_co_u32_e32 v3, vcc, v31, v3, vcc
	v_or_b32_sdwa v0, v0, v6 dst_sel:DWORD dst_unused:UNUSED_PAD src0_sel:DWORD src1_sel:BYTE_0
	global_store_dwordx2 v[2:3], v[0:1], off
.LBB6_132:
	s_or_b64 exec, exec, s[6:7]
	s_cmp_lg_u64 s[10:11], 0
	s_cselect_b64 s[0:1], -1, 0
	v_cmp_eq_u32_e32 vcc, 0, v8
	s_and_b64 s[6:7], s[0:1], vcc
	s_and_saveexec_b64 s[0:1], s[6:7]
	s_cbranch_execz .LBB6_134
; %bb.133:
	v_mad_u64_u32 v[0:1], s[6:7], v5, s16, v[4:5]
	v_mov_b32_e32 v1, 0
	v_lshlrev_b64 v[0:1], 2, v[0:1]
	v_mov_b32_e32 v3, s3
	v_add_co_u32_e32 v2, vcc, s2, v0
	v_addc_co_u32_e32 v3, vcc, v3, v1, vcc
	global_load_dword v2, v[2:3], off
	v_mov_b32_e32 v3, s11
	v_add_co_u32_e32 v0, vcc, s10, v0
	v_addc_co_u32_e32 v1, vcc, v3, v1, vcc
	s_waitcnt vmcnt(0)
	global_store_dword v[0:1], v2, off
.LBB6_134:
	s_or_b64 exec, exec, s[0:1]
                                        ; implicit-def: $vgpr8
                                        ; implicit-def: $vgpr4
                                        ; implicit-def: $vgpr5
                                        ; implicit-def: $vgpr6
                                        ; implicit-def: $vgpr0_vgpr1
                                        ; implicit-def: $vgpr32
                                        ; implicit-def: $vgpr2
                                        ; implicit-def: $vgpr3
                                        ; implicit-def: $vgpr30
                                        ; implicit-def: $vgpr31
.LBB6_135:
	s_andn2_saveexec_b64 s[0:1], s[4:5]
	s_cbranch_execz .LBB6_403
; %bb.136:
	v_mad_u64_u32 v[4:5], s[0:1], v5, s16, v[4:5]
	v_mov_b32_e32 v5, 0
	v_lshlrev_b64 v[10:11], 2, v[4:5]
	v_mov_b32_e32 v5, s15
	v_add_co_u32_e32 v4, vcc, s14, v10
	v_addc_co_u32_e32 v5, vcc, v5, v11, vcc
	global_load_dword v7, v[4:5], off
	v_mov_b32_e32 v5, s3
	v_add_co_u32_e32 v4, vcc, s2, v10
	v_addc_co_u32_e32 v5, vcc, v5, v11, vcc
	global_load_dword v9, v[4:5], off
	v_mov_b32_e32 v5, s13
	v_add_co_u32_e32 v4, vcc, s12, v0
	v_mov_b32_e32 v12, 0x204
	v_addc_co_u32_e32 v5, vcc, v5, v1, vcc
	v_mov_b32_e32 v13, 0xff800000
	s_mov_b32 s0, 0x7f800000
	s_waitcnt vmcnt(1)
	v_cmp_class_f32_e32 vcc, v7, v12
	v_cndmask_b32_e32 v0, v7, v13, vcc
	v_max_f32_e32 v7, v0, v0
	s_waitcnt vmcnt(0)
	v_cmp_class_f32_e32 vcc, v9, v12
	v_cndmask_b32_e32 v1, v9, v13, vcc
	v_max_f32_e32 v9, v1, v1
	v_max_f32_e32 v12, v7, v9
	v_cmp_neq_f32_e64 s[0:1], |v12|, s0
	s_and_saveexec_b64 s[2:3], s[0:1]
	s_xor_b64 s[2:3], exec, s[2:3]
	s_cbranch_execz .LBB6_270
; %bb.137:
	v_pk_add_f32 v[0:1], v[0:1], v[12:13] op_sel_hi:[1,0] neg_lo:[0,1] neg_hi:[0,1]
	s_mov_b32 s0, 0x3fb8aa3b
	v_mul_f32_e32 v7, 0x3fb8aa3b, v1
	v_fma_f32 v9, v1, s0, -v7
	v_rndne_f32_e32 v13, v7
	v_fmac_f32_e32 v9, 0x32a5705f, v1
	v_sub_f32_e32 v7, v7, v13
	v_add_f32_e32 v7, v7, v9
	v_exp_f32_e32 v7, v7
	v_cvt_i32_f32_e32 v9, v13
	s_mov_b32 s1, 0xc2ce8ed0
	v_cmp_ngt_f32_e32 vcc, s1, v1
	s_mov_b32 s4, 0x42b17218
	v_ldexp_f32 v7, v7, v9
	v_mul_f32_e32 v9, 0x3fb8aa3b, v0
	v_fma_f32 v13, v0, s0, -v9
	v_rndne_f32_e32 v14, v9
	v_fmac_f32_e32 v13, 0x32a5705f, v0
	v_sub_f32_e32 v9, v9, v14
	v_add_f32_e32 v9, v9, v13
	v_exp_f32_e32 v9, v9
	v_cvt_i32_f32_e32 v13, v14
	v_cndmask_b32_e32 v7, 0, v7, vcc
	v_mov_b32_e32 v14, 0x7f800000
	v_cmp_nlt_f32_e32 vcc, s4, v1
	v_cndmask_b32_e32 v17, v14, v7, vcc
	v_ldexp_f32 v1, v9, v13
	v_cmp_ngt_f32_e32 vcc, s1, v0
	v_cndmask_b32_e32 v1, 0, v1, vcc
	v_cmp_nlt_f32_e32 vcc, s4, v0
	v_cndmask_b32_e32 v16, v14, v1, vcc
	v_mov_b32_e32 v0, v17
	v_pk_add_f32 v[14:15], v[16:17], v[0:1] op_sel_hi:[1,0]
	v_cmp_gt_u32_e32 vcc, s18, v6
	s_and_saveexec_b64 s[4:5], vcc
	s_cbranch_execz .LBB6_267
; %bb.138:
	v_mov_b32_e32 v9, 0
	v_lshlrev_b64 v[0:1], 4, v[8:9]
	v_add_co_u32_e32 v18, vcc, v4, v0
	v_addc_co_u32_e32 v19, vcc, v5, v1, vcc
	v_add_co_u32_e32 v20, vcc, v2, v0
	v_addc_co_u32_e32 v21, vcc, v3, v1, vcc
	global_load_dwordx4 v[0:3], v[20:21], off
	global_load_dwordx4 v[4:7], v[18:19], off
	v_div_scale_f32 v13, s[0:1], v14, v14, v17
	v_div_scale_f32 v18, s[0:1], v14, v14, v16
	v_rcp_f32_e32 v20, v13
	v_rcp_f32_e32 v21, v18
	v_div_scale_f32 v15, vcc, v17, v14, v17
	v_fma_f32 v22, -v13, v20, 1.0
	v_fma_f32 v24, -v18, v21, 1.0
	v_fmac_f32_e32 v20, v22, v20
	v_div_scale_f32 v19, s[0:1], v16, v14, v16
	v_fmac_f32_e32 v21, v24, v21
	v_mul_f32_e32 v22, v15, v20
	v_mul_f32_e32 v24, v19, v21
	v_fma_f32 v26, -v13, v22, v15
	v_fma_f32 v27, -v18, v24, v19
	v_fmac_f32_e32 v22, v26, v20
	v_fmac_f32_e32 v24, v27, v21
	v_fma_f32 v13, -v13, v22, v15
	v_fma_f32 v15, -v18, v24, v19
	v_div_fmas_f32 v13, v13, v20, v22
	s_mov_b64 vcc, s[0:1]
	v_div_fixup_f32 v19, v13, v14, v17
	v_div_fmas_f32 v13, v15, v21, v24
	v_div_fixup_f32 v18, v13, v14, v16
	s_movk_i32 s8, 0x80
	s_mov_b64 s[6:7], 0x7f800000
	v_mov_b32_e32 v25, v9
	v_mov_b32_e32 v23, v9
	s_waitcnt vmcnt(1)
	v_lshlrev_b32_e32 v17, 16, v0
	s_waitcnt vmcnt(0)
	v_lshlrev_b32_e32 v16, 16, v4
	v_pk_mul_f32 v[16:17], v[18:19], v[16:17]
	v_add_f32_e32 v13, v16, v17
	v_mul_f32_e32 v13, v32, v13
	v_min_f32_e32 v13, 0x43e00000, v13
	v_max_f32_e32 v13, 0xc3e00000, v13
	v_and_b32_sdwa v20, v13, s8 dst_sel:DWORD dst_unused:UNUSED_PAD src0_sel:BYTE_3 src1_sel:DWORD
	v_and_b32_e32 v24, 0x7f800000, v13
	v_and_b32_e32 v22, 0x7fffff, v13
	v_or_b32_e32 v16, 0x7e, v20
	v_cmp_ne_u64_e32 vcc, s[6:7], v[24:25]
	s_and_saveexec_b64 s[0:1], vcc
	s_xor_b64 s[6:7], exec, s[0:1]
	s_cbranch_execz .LBB6_152
; %bb.139:
	v_and_b32_e32 v24, 0x7fffffff, v13
	v_mov_b32_e32 v25, v9
	s_mov_b64 s[0:1], 0x43e00001
	v_cmp_gt_u64_e32 vcc, s[0:1], v[24:25]
	s_and_saveexec_b64 s[0:1], vcc
	s_xor_b64 s[8:9], exec, s[0:1]
	s_cbranch_execz .LBB6_151
; %bb.140:
	v_cmp_ne_u32_e32 vcc, 0, v13
	v_pk_mov_b32 v[16:17], 0, 0
	s_and_saveexec_b64 s[12:13], vcc
	s_cbranch_execz .LBB6_150
; %bb.141:
	v_bfe_u32 v13, v13, 23, 8
	s_movk_i32 s0, 0x79
	v_sub_u32_e64 v15, s0, v13 clamp
	v_mov_b32_e32 v17, 0x78
	v_cmp_eq_u32_e32 vcc, 0, v13
	v_add_u32_e32 v21, 0xffffff88, v13
	v_cndmask_b32_e32 v13, v15, v17, vcc
	v_or_b32_e32 v16, 0x800000, v22
	v_add_u32_e32 v15, 20, v13
	v_cndmask_b32_e32 v22, v16, v22, vcc
	v_lshlrev_b64 v[16:17], v15, -1
	v_not_b32_e32 v15, v17
	v_not_b32_e32 v16, v16
	v_and_b32_e32 v17, 0, v15
	v_add_u32_e32 v15, 19, v13
	v_and_b32_e32 v16, v22, v16
	v_lshlrev_b64 v[24:25], v15, 1
	v_cmp_eq_u64_e64 s[0:1], v[16:17], v[24:25]
	v_lshrrev_b64 v[16:17], v13, v[22:23]
	v_mov_b32_e32 v15, 0xffffff89
	v_and_b32_e32 v22, 0x100000, v16
	v_mov_b32_e32 v23, 0
	v_cndmask_b32_e32 v15, v21, v15, vcc
	v_cmp_eq_u64_e32 vcc, 0, v[22:23]
	v_lshrrev_b32_e32 v21, 23, v16
	s_and_b64 vcc, vcc, s[0:1]
	v_add3_u32 v15, v15, v13, v21
	v_subbrev_co_u32_e32 v13, vcc, 0, v16, vcc
	v_and_b32_e32 v13, 0xfffff, v13
	v_add_co_u32_e32 v16, vcc, v13, v16
	v_add_u32_e32 v21, -1, v15
	v_addc_co_u32_e32 v17, vcc, 0, v17, vcc
	v_cmp_ne_u32_e32 vcc, 0, v21
                                        ; implicit-def: $vgpr13
	s_and_saveexec_b64 s[0:1], vcc
	s_xor_b64 s[0:1], exec, s[0:1]
; %bb.142:
	v_and_b32_e32 v22, 0x1000000, v16
	v_cmp_eq_u64_e32 vcc, 0, v[22:23]
	v_cndmask_b32_e32 v13, v15, v21, vcc
	v_bfe_u32 v15, v16, 24, 1
	v_lshrrev_b64 v[16:17], v15, v[16:17]
; %bb.143:
	s_andn2_saveexec_b64 s[0:1], s[0:1]
; %bb.144:
	v_bfe_u32 v13, v16, 23, 1
; %bb.145:
	s_or_b64 exec, exec, s[0:1]
	v_lshrrev_b64 v[16:17], 20, v[16:17]
	v_cmp_gt_i32_e32 vcc, 16, v13
	v_cndmask_b32_e32 v23, 0, v17, vcc
	v_cndmask_b32_e32 v22, 7, v16, vcc
	v_cmp_ne_u32_e32 vcc, 0, v13
	v_cmp_ne_u64_e64 s[0:1], 0, v[22:23]
	s_or_b64 s[0:1], vcc, s[0:1]
                                        ; implicit-def: $vgpr16_vgpr17
	s_and_saveexec_b64 s[14:15], s[0:1]
	s_xor_b64 s[0:1], exec, s[14:15]
; %bb.146:
	v_min_i32_e32 v13, 15, v13
	v_lshl_or_b32 v13, v13, 3, v20
	v_and_or_b32 v16, v22, 7, v13
                                        ; implicit-def: $vgpr20
; %bb.147:
	s_andn2_saveexec_b64 s[0:1], s[0:1]
; %bb.148:
	v_pk_mov_b32 v[16:17], v[20:21], v[20:21] op_sel:[0,1]
; %bb.149:
	s_or_b64 exec, exec, s[0:1]
.LBB6_150:
	s_or_b64 exec, exec, s[12:13]
.LBB6_151:
	s_andn2_saveexec_b64 s[0:1], s[8:9]
	s_or_b64 exec, exec, s[0:1]
                                        ; implicit-def: $vgpr13
                                        ; implicit-def: $vgpr22_vgpr23
.LBB6_152:
	s_andn2_saveexec_b64 s[0:1], s[6:7]
; %bb.153:
	s_movk_i32 s6, 0x7f
	v_or_b32_sdwa v13, v13, s6 dst_sel:DWORD dst_unused:UNUSED_PAD src0_sel:BYTE_3 src1_sel:DWORD
	v_cmp_eq_u64_e32 vcc, 0, v[22:23]
	v_cndmask_b32_e32 v16, v13, v16, vcc
; %bb.154:
	s_or_b64 exec, exec, s[0:1]
	v_and_b32_e32 v0, 0xffff0000, v0
	v_and_b32_e32 v4, 0xffff0000, v4
	v_mul_f32_e32 v0, v19, v0
	v_fmac_f32_e32 v0, v18, v4
	v_mul_f32_e32 v0, v32, v0
	v_min_f32_e32 v0, 0x43e00000, v0
	v_max_f32_e32 v4, 0xc3e00000, v0
	v_mov_b32_e32 v23, 0
	s_movk_i32 s0, 0x80
	v_and_b32_sdwa v0, v4, s0 dst_sel:DWORD dst_unused:UNUSED_PAD src0_sel:BYTE_3 src1_sel:DWORD
	v_and_b32_e32 v24, 0x7f800000, v4
	v_mov_b32_e32 v25, v23
	s_mov_b64 s[0:1], 0x7f800000
	v_and_b32_e32 v22, 0x7fffff, v4
	v_or_b32_e32 v20, 0x7e, v0
	v_cmp_ne_u64_e32 vcc, s[0:1], v[24:25]
	s_and_saveexec_b64 s[0:1], vcc
	s_xor_b64 s[6:7], exec, s[0:1]
	s_cbranch_execz .LBB6_168
; %bb.155:
	v_and_b32_e32 v24, 0x7fffffff, v4
	v_mov_b32_e32 v25, v23
	s_mov_b64 s[0:1], 0x43e00001
	v_cmp_gt_u64_e32 vcc, s[0:1], v[24:25]
	s_and_saveexec_b64 s[0:1], vcc
	s_xor_b64 s[8:9], exec, s[0:1]
	s_cbranch_execz .LBB6_167
; %bb.156:
	v_cmp_ne_u32_e32 vcc, 0, v4
	v_pk_mov_b32 v[20:21], 0, 0
	s_and_saveexec_b64 s[12:13], vcc
	s_cbranch_execz .LBB6_166
; %bb.157:
	v_bfe_u32 v4, v4, 23, 8
	s_movk_i32 s0, 0x79
	v_sub_u32_e64 v13, s0, v4 clamp
	v_mov_b32_e32 v20, 0x78
	v_cmp_eq_u32_e32 vcc, 0, v4
	v_add_u32_e32 v17, 0xffffff88, v4
	v_cndmask_b32_e32 v4, v13, v20, vcc
	v_add_u32_e32 v13, 20, v4
	v_lshlrev_b64 v[20:21], v13, -1
	v_or_b32_e32 v15, 0x800000, v22
	v_not_b32_e32 v13, v21
	v_cndmask_b32_e32 v22, v15, v22, vcc
	v_not_b32_e32 v15, v20
	v_and_b32_e32 v21, 0, v13
	v_add_u32_e32 v13, 19, v4
	v_and_b32_e32 v20, v22, v15
	v_lshlrev_b64 v[24:25], v13, 1
	v_cmp_eq_u64_e64 s[0:1], v[20:21], v[24:25]
	v_lshrrev_b64 v[20:21], v4, v[22:23]
	v_mov_b32_e32 v13, 0xffffff89
	v_and_b32_e32 v22, 0x100000, v20
	v_mov_b32_e32 v23, 0
	v_cndmask_b32_e32 v13, v17, v13, vcc
	v_cmp_eq_u64_e32 vcc, 0, v[22:23]
	v_lshrrev_b32_e32 v15, 23, v20
	s_and_b64 vcc, vcc, s[0:1]
	v_add3_u32 v13, v13, v4, v15
	v_subbrev_co_u32_e32 v4, vcc, 0, v20, vcc
	v_and_b32_e32 v4, 0xfffff, v4
	v_add_co_u32_e32 v20, vcc, v4, v20
	v_add_u32_e32 v15, -1, v13
	v_addc_co_u32_e32 v21, vcc, 0, v21, vcc
	v_cmp_ne_u32_e32 vcc, 0, v15
                                        ; implicit-def: $vgpr4
	s_and_saveexec_b64 s[0:1], vcc
	s_xor_b64 s[0:1], exec, s[0:1]
; %bb.158:
	v_and_b32_e32 v22, 0x1000000, v20
	v_cmp_eq_u64_e32 vcc, 0, v[22:23]
	v_cndmask_b32_e32 v4, v13, v15, vcc
	v_bfe_u32 v13, v20, 24, 1
	v_lshrrev_b64 v[20:21], v13, v[20:21]
; %bb.159:
	s_andn2_saveexec_b64 s[0:1], s[0:1]
; %bb.160:
	v_bfe_u32 v4, v20, 23, 1
; %bb.161:
	s_or_b64 exec, exec, s[0:1]
	v_lshrrev_b64 v[20:21], 20, v[20:21]
	v_cmp_gt_i32_e32 vcc, 16, v4
	v_cndmask_b32_e32 v23, 0, v21, vcc
	v_cndmask_b32_e32 v22, 7, v20, vcc
	v_cmp_ne_u32_e32 vcc, 0, v4
	v_cmp_ne_u64_e64 s[0:1], 0, v[22:23]
	s_or_b64 s[0:1], vcc, s[0:1]
                                        ; implicit-def: $vgpr20_vgpr21
	s_and_saveexec_b64 s[14:15], s[0:1]
	s_xor_b64 s[0:1], exec, s[14:15]
; %bb.162:
	v_min_i32_e32 v4, 15, v4
	v_lshl_or_b32 v0, v4, 3, v0
	v_and_or_b32 v20, v22, 7, v0
                                        ; implicit-def: $vgpr0
; %bb.163:
	s_andn2_saveexec_b64 s[0:1], s[0:1]
; %bb.164:
	v_pk_mov_b32 v[20:21], v[0:1], v[0:1] op_sel:[0,1]
; %bb.165:
	s_or_b64 exec, exec, s[0:1]
.LBB6_166:
	s_or_b64 exec, exec, s[12:13]
.LBB6_167:
	s_andn2_saveexec_b64 s[0:1], s[8:9]
	s_or_b64 exec, exec, s[0:1]
                                        ; implicit-def: $vgpr4
                                        ; implicit-def: $vgpr22_vgpr23
.LBB6_168:
	s_andn2_saveexec_b64 s[0:1], s[6:7]
; %bb.169:
	s_movk_i32 s6, 0x7f
	v_or_b32_sdwa v0, v4, s6 dst_sel:DWORD dst_unused:UNUSED_PAD src0_sel:BYTE_3 src1_sel:DWORD
	v_cmp_eq_u64_e32 vcc, 0, v[22:23]
	v_cndmask_b32_e32 v20, v0, v20, vcc
; %bb.170:
	s_or_b64 exec, exec, s[0:1]
	v_lshlrev_b32_e32 v4, 16, v1
	v_lshlrev_b32_e32 v0, 16, v5
	v_mul_f32_e32 v4, v19, v4
	v_fmac_f32_e32 v4, v18, v0
	v_mul_f32_e32 v0, v32, v4
	v_min_f32_e32 v0, 0x43e00000, v0
	v_max_f32_e32 v4, 0xc3e00000, v0
	v_mov_b32_e32 v25, 0
	s_movk_i32 s0, 0x80
	v_and_b32_sdwa v0, v4, s0 dst_sel:DWORD dst_unused:UNUSED_PAD src0_sel:BYTE_3 src1_sel:DWORD
	v_and_b32_e32 v26, 0x7f800000, v4
	v_mov_b32_e32 v27, v25
	s_mov_b64 s[0:1], 0x7f800000
	v_and_b32_e32 v24, 0x7fffff, v4
	v_or_b32_e32 v22, 0x7e, v0
	v_cmp_ne_u64_e32 vcc, s[0:1], v[26:27]
	s_and_saveexec_b64 s[0:1], vcc
	s_xor_b64 s[6:7], exec, s[0:1]
	s_cbranch_execz .LBB6_184
; %bb.171:
	v_and_b32_e32 v26, 0x7fffffff, v4
	v_mov_b32_e32 v27, v25
	s_mov_b64 s[0:1], 0x43e00001
	v_cmp_gt_u64_e32 vcc, s[0:1], v[26:27]
	s_and_saveexec_b64 s[0:1], vcc
	s_xor_b64 s[8:9], exec, s[0:1]
	s_cbranch_execz .LBB6_183
; %bb.172:
	v_cmp_ne_u32_e32 vcc, 0, v4
	v_pk_mov_b32 v[22:23], 0, 0
	s_and_saveexec_b64 s[12:13], vcc
	s_cbranch_execz .LBB6_182
; %bb.173:
	v_bfe_u32 v4, v4, 23, 8
	s_movk_i32 s0, 0x79
	v_sub_u32_e64 v13, s0, v4 clamp
	v_mov_b32_e32 v21, 0x78
	v_cmp_eq_u32_e32 vcc, 0, v4
	v_add_u32_e32 v17, 0xffffff88, v4
	v_cndmask_b32_e32 v4, v13, v21, vcc
	v_add_u32_e32 v13, 20, v4
	v_lshlrev_b64 v[22:23], v13, -1
	v_or_b32_e32 v15, 0x800000, v24
	v_not_b32_e32 v13, v23
	v_cndmask_b32_e32 v24, v15, v24, vcc
	v_not_b32_e32 v15, v22
	v_and_b32_e32 v23, 0, v13
	v_add_u32_e32 v13, 19, v4
	v_and_b32_e32 v22, v24, v15
	v_lshlrev_b64 v[26:27], v13, 1
	v_cmp_eq_u64_e64 s[0:1], v[22:23], v[26:27]
	v_lshrrev_b64 v[22:23], v4, v[24:25]
	v_mov_b32_e32 v13, 0xffffff89
	v_and_b32_e32 v24, 0x100000, v22
	v_mov_b32_e32 v25, 0
	v_cndmask_b32_e32 v13, v17, v13, vcc
	v_cmp_eq_u64_e32 vcc, 0, v[24:25]
	v_lshrrev_b32_e32 v15, 23, v22
	s_and_b64 vcc, vcc, s[0:1]
	v_add3_u32 v13, v13, v4, v15
	v_subbrev_co_u32_e32 v4, vcc, 0, v22, vcc
	v_and_b32_e32 v4, 0xfffff, v4
	v_add_co_u32_e32 v22, vcc, v4, v22
	v_add_u32_e32 v15, -1, v13
	v_addc_co_u32_e32 v23, vcc, 0, v23, vcc
	v_cmp_ne_u32_e32 vcc, 0, v15
                                        ; implicit-def: $vgpr4
	s_and_saveexec_b64 s[0:1], vcc
	s_xor_b64 s[0:1], exec, s[0:1]
; %bb.174:
	v_and_b32_e32 v24, 0x1000000, v22
	v_cmp_eq_u64_e32 vcc, 0, v[24:25]
	v_cndmask_b32_e32 v4, v13, v15, vcc
	v_bfe_u32 v13, v22, 24, 1
	v_lshrrev_b64 v[22:23], v13, v[22:23]
; %bb.175:
	s_andn2_saveexec_b64 s[0:1], s[0:1]
; %bb.176:
	v_bfe_u32 v4, v22, 23, 1
; %bb.177:
	s_or_b64 exec, exec, s[0:1]
	v_lshrrev_b64 v[22:23], 20, v[22:23]
	v_cmp_gt_i32_e32 vcc, 16, v4
	v_cndmask_b32_e32 v25, 0, v23, vcc
	v_cndmask_b32_e32 v24, 7, v22, vcc
	v_cmp_ne_u32_e32 vcc, 0, v4
	v_cmp_ne_u64_e64 s[0:1], 0, v[24:25]
	s_or_b64 s[0:1], vcc, s[0:1]
                                        ; implicit-def: $vgpr22_vgpr23
	s_and_saveexec_b64 s[14:15], s[0:1]
	s_xor_b64 s[0:1], exec, s[14:15]
; %bb.178:
	v_min_i32_e32 v4, 15, v4
	v_lshl_or_b32 v0, v4, 3, v0
	v_and_or_b32 v22, v24, 7, v0
                                        ; implicit-def: $vgpr0
; %bb.179:
	s_andn2_saveexec_b64 s[0:1], s[0:1]
; %bb.180:
	v_pk_mov_b32 v[22:23], v[0:1], v[0:1] op_sel:[0,1]
; %bb.181:
	s_or_b64 exec, exec, s[0:1]
.LBB6_182:
	s_or_b64 exec, exec, s[12:13]
.LBB6_183:
	s_andn2_saveexec_b64 s[0:1], s[8:9]
	s_or_b64 exec, exec, s[0:1]
                                        ; implicit-def: $vgpr4
                                        ; implicit-def: $vgpr24_vgpr25
.LBB6_184:
	s_andn2_saveexec_b64 s[0:1], s[6:7]
; %bb.185:
	s_movk_i32 s6, 0x7f
	v_or_b32_sdwa v0, v4, s6 dst_sel:DWORD dst_unused:UNUSED_PAD src0_sel:BYTE_3 src1_sel:DWORD
	v_cmp_eq_u64_e32 vcc, 0, v[24:25]
	v_cndmask_b32_e32 v22, v0, v22, vcc
; %bb.186:
	s_or_b64 exec, exec, s[0:1]
	v_and_b32_e32 v1, 0xffff0000, v1
	v_and_b32_e32 v0, 0xffff0000, v5
	v_mul_f32_e32 v1, v19, v1
	v_fmac_f32_e32 v1, v18, v0
	v_mul_f32_e32 v0, v32, v1
	v_min_f32_e32 v0, 0x43e00000, v0
	v_max_f32_e32 v5, 0xc3e00000, v0
	v_mov_b32_e32 v25, 0
	s_movk_i32 s0, 0x80
	v_and_b32_sdwa v4, v5, s0 dst_sel:DWORD dst_unused:UNUSED_PAD src0_sel:BYTE_3 src1_sel:DWORD
	v_and_b32_e32 v26, 0x7f800000, v5
	v_mov_b32_e32 v27, v25
	s_mov_b64 s[0:1], 0x7f800000
	v_and_b32_e32 v24, 0x7fffff, v5
	v_or_b32_e32 v0, 0x7e, v4
	v_cmp_ne_u64_e32 vcc, s[0:1], v[26:27]
	s_and_saveexec_b64 s[0:1], vcc
	s_xor_b64 s[6:7], exec, s[0:1]
	s_cbranch_execz .LBB6_200
; %bb.187:
	v_and_b32_e32 v26, 0x7fffffff, v5
	v_mov_b32_e32 v27, v25
	s_mov_b64 s[0:1], 0x43e00001
	v_cmp_gt_u64_e32 vcc, s[0:1], v[26:27]
	s_and_saveexec_b64 s[0:1], vcc
	s_xor_b64 s[8:9], exec, s[0:1]
	s_cbranch_execz .LBB6_199
; %bb.188:
	v_cmp_ne_u32_e32 vcc, 0, v5
	v_pk_mov_b32 v[0:1], 0, 0
	s_and_saveexec_b64 s[12:13], vcc
	s_cbranch_execz .LBB6_198
; %bb.189:
	v_bfe_u32 v0, v5, 23, 8
	s_movk_i32 s0, 0x79
	v_sub_u32_e64 v1, s0, v0 clamp
	v_mov_b32_e32 v15, 0x78
	v_cmp_eq_u32_e32 vcc, 0, v0
	v_cndmask_b32_e32 v15, v1, v15, vcc
	v_add_u32_e32 v13, 0xffffff88, v0
	v_add_u32_e32 v0, 20, v15
	v_or_b32_e32 v5, 0x800000, v24
	v_lshlrev_b64 v[0:1], v0, -1
	v_cndmask_b32_e32 v24, v5, v24, vcc
	v_not_b32_e32 v1, v1
	v_not_b32_e32 v0, v0
	v_add_u32_e32 v5, 19, v15
	v_and_b32_e32 v1, 0, v1
	v_and_b32_e32 v0, v24, v0
	v_lshlrev_b64 v[26:27], v5, 1
	v_cmp_eq_u64_e64 s[0:1], v[0:1], v[26:27]
	v_lshrrev_b64 v[0:1], v15, v[24:25]
	v_mov_b32_e32 v5, 0xffffff89
	v_and_b32_e32 v24, 0x100000, v0
	v_mov_b32_e32 v25, 0
	v_cndmask_b32_e32 v5, v13, v5, vcc
	v_cmp_eq_u64_e32 vcc, 0, v[24:25]
	v_lshrrev_b32_e32 v13, 23, v0
	s_and_b64 vcc, vcc, s[0:1]
	v_add3_u32 v13, v5, v15, v13
	v_subbrev_co_u32_e32 v5, vcc, 0, v0, vcc
	v_and_b32_e32 v5, 0xfffff, v5
	v_add_co_u32_e32 v0, vcc, v5, v0
	v_add_u32_e32 v15, -1, v13
	v_addc_co_u32_e32 v1, vcc, 0, v1, vcc
	v_cmp_ne_u32_e32 vcc, 0, v15
                                        ; implicit-def: $vgpr5
	s_and_saveexec_b64 s[0:1], vcc
	s_xor_b64 s[0:1], exec, s[0:1]
; %bb.190:
	v_and_b32_e32 v24, 0x1000000, v0
	v_cmp_eq_u64_e32 vcc, 0, v[24:25]
	v_cndmask_b32_e32 v5, v13, v15, vcc
	v_bfe_u32 v13, v0, 24, 1
	v_lshrrev_b64 v[0:1], v13, v[0:1]
; %bb.191:
	s_andn2_saveexec_b64 s[0:1], s[0:1]
; %bb.192:
	v_bfe_u32 v5, v0, 23, 1
; %bb.193:
	s_or_b64 exec, exec, s[0:1]
	v_lshrrev_b64 v[0:1], 20, v[0:1]
	v_cmp_gt_i32_e32 vcc, 16, v5
	v_cndmask_b32_e32 v25, 0, v1, vcc
	v_cndmask_b32_e32 v24, 7, v0, vcc
	v_cmp_ne_u32_e32 vcc, 0, v5
	v_cmp_ne_u64_e64 s[0:1], 0, v[24:25]
	s_or_b64 s[0:1], vcc, s[0:1]
                                        ; implicit-def: $vgpr0_vgpr1
	s_and_saveexec_b64 s[14:15], s[0:1]
	s_xor_b64 s[0:1], exec, s[14:15]
; %bb.194:
	v_min_i32_e32 v0, 15, v5
	v_lshl_or_b32 v0, v0, 3, v4
	v_and_or_b32 v0, v24, 7, v0
                                        ; implicit-def: $vgpr4
; %bb.195:
	s_andn2_saveexec_b64 s[0:1], s[0:1]
; %bb.196:
	v_pk_mov_b32 v[0:1], v[4:5], v[4:5] op_sel:[0,1]
; %bb.197:
	s_or_b64 exec, exec, s[0:1]
.LBB6_198:
	s_or_b64 exec, exec, s[12:13]
.LBB6_199:
	s_andn2_saveexec_b64 s[0:1], s[8:9]
	s_or_b64 exec, exec, s[0:1]
                                        ; implicit-def: $vgpr5
                                        ; implicit-def: $vgpr24_vgpr25
.LBB6_200:
	s_andn2_saveexec_b64 s[0:1], s[6:7]
; %bb.201:
	s_movk_i32 s6, 0x7f
	v_or_b32_sdwa v1, v5, s6 dst_sel:DWORD dst_unused:UNUSED_PAD src0_sel:BYTE_3 src1_sel:DWORD
	v_cmp_eq_u64_e32 vcc, 0, v[24:25]
	v_cndmask_b32_e32 v0, v1, v0, vcc
; %bb.202:
	s_or_b64 exec, exec, s[0:1]
	v_lshlrev_b32_e32 v4, 16, v2
	v_lshlrev_b32_e32 v1, 16, v6
	v_mul_f32_e32 v4, v19, v4
	v_fmac_f32_e32 v4, v18, v1
	v_mul_f32_e32 v1, v32, v4
	v_min_f32_e32 v1, 0x43e00000, v1
	v_max_f32_e32 v1, 0xc3e00000, v1
	v_mov_b32_e32 v27, 0
	s_movk_i32 s0, 0x80
	v_and_b32_sdwa v24, v1, s0 dst_sel:DWORD dst_unused:UNUSED_PAD src0_sel:BYTE_3 src1_sel:DWORD
	v_and_b32_e32 v28, 0x7f800000, v1
	v_mov_b32_e32 v29, v27
	s_mov_b64 s[0:1], 0x7f800000
	v_and_b32_e32 v26, 0x7fffff, v1
	v_or_b32_e32 v4, 0x7e, v24
	v_cmp_ne_u64_e32 vcc, s[0:1], v[28:29]
	s_and_saveexec_b64 s[0:1], vcc
	s_xor_b64 s[6:7], exec, s[0:1]
	s_cbranch_execz .LBB6_216
; %bb.203:
	v_and_b32_e32 v28, 0x7fffffff, v1
	v_mov_b32_e32 v29, v27
	s_mov_b64 s[0:1], 0x43e00001
	v_cmp_gt_u64_e32 vcc, s[0:1], v[28:29]
	s_and_saveexec_b64 s[0:1], vcc
	s_xor_b64 s[8:9], exec, s[0:1]
	s_cbranch_execz .LBB6_215
; %bb.204:
	v_cmp_ne_u32_e32 vcc, 0, v1
	v_pk_mov_b32 v[4:5], 0, 0
	s_and_saveexec_b64 s[12:13], vcc
	s_cbranch_execz .LBB6_214
; %bb.205:
	v_bfe_u32 v1, v1, 23, 8
	s_movk_i32 s0, 0x79
	v_sub_u32_e64 v4, s0, v1 clamp
	v_mov_b32_e32 v15, 0x78
	v_cmp_eq_u32_e32 vcc, 0, v1
	v_add_u32_e32 v13, 0xffffff88, v1
	v_cndmask_b32_e32 v1, v4, v15, vcc
	v_or_b32_e32 v5, 0x800000, v26
	v_add_u32_e32 v4, 20, v1
	v_cndmask_b32_e32 v26, v5, v26, vcc
	v_lshlrev_b64 v[4:5], v4, -1
	v_not_b32_e32 v5, v5
	v_not_b32_e32 v4, v4
	v_add_u32_e32 v15, 19, v1
	v_and_b32_e32 v5, 0, v5
	v_and_b32_e32 v4, v26, v4
	v_lshlrev_b64 v[28:29], v15, 1
	v_cmp_eq_u64_e64 s[0:1], v[4:5], v[28:29]
	v_lshrrev_b64 v[4:5], v1, v[26:27]
	v_mov_b32_e32 v15, 0xffffff89
	v_and_b32_e32 v26, 0x100000, v4
	v_mov_b32_e32 v27, 0
	v_cndmask_b32_e32 v13, v13, v15, vcc
	v_cmp_eq_u64_e32 vcc, 0, v[26:27]
	v_lshrrev_b32_e32 v15, 23, v4
	s_and_b64 vcc, vcc, s[0:1]
	v_add3_u32 v13, v13, v1, v15
	v_subbrev_co_u32_e32 v1, vcc, 0, v4, vcc
	v_and_b32_e32 v1, 0xfffff, v1
	v_add_co_u32_e32 v4, vcc, v1, v4
	v_add_u32_e32 v15, -1, v13
	v_addc_co_u32_e32 v5, vcc, 0, v5, vcc
	v_cmp_ne_u32_e32 vcc, 0, v15
                                        ; implicit-def: $vgpr1
	s_and_saveexec_b64 s[0:1], vcc
	s_xor_b64 s[0:1], exec, s[0:1]
; %bb.206:
	v_and_b32_e32 v26, 0x1000000, v4
	v_cmp_eq_u64_e32 vcc, 0, v[26:27]
	v_cndmask_b32_e32 v1, v13, v15, vcc
	v_bfe_u32 v13, v4, 24, 1
	v_lshrrev_b64 v[4:5], v13, v[4:5]
; %bb.207:
	s_andn2_saveexec_b64 s[0:1], s[0:1]
; %bb.208:
	v_bfe_u32 v1, v4, 23, 1
; %bb.209:
	s_or_b64 exec, exec, s[0:1]
	v_lshrrev_b64 v[4:5], 20, v[4:5]
	v_cmp_gt_i32_e32 vcc, 16, v1
	v_cndmask_b32_e32 v27, 0, v5, vcc
	v_cndmask_b32_e32 v26, 7, v4, vcc
	v_cmp_ne_u32_e32 vcc, 0, v1
	v_cmp_ne_u64_e64 s[0:1], 0, v[26:27]
	s_or_b64 s[0:1], vcc, s[0:1]
                                        ; implicit-def: $vgpr4_vgpr5
	s_and_saveexec_b64 s[14:15], s[0:1]
	s_xor_b64 s[0:1], exec, s[14:15]
; %bb.210:
	v_min_i32_e32 v1, 15, v1
	v_lshl_or_b32 v1, v1, 3, v24
	v_and_or_b32 v4, v26, 7, v1
                                        ; implicit-def: $vgpr24
; %bb.211:
	s_andn2_saveexec_b64 s[0:1], s[0:1]
; %bb.212:
	v_pk_mov_b32 v[4:5], v[24:25], v[24:25] op_sel:[0,1]
; %bb.213:
	s_or_b64 exec, exec, s[0:1]
.LBB6_214:
	s_or_b64 exec, exec, s[12:13]
.LBB6_215:
	s_andn2_saveexec_b64 s[0:1], s[8:9]
	s_or_b64 exec, exec, s[0:1]
                                        ; implicit-def: $vgpr1
                                        ; implicit-def: $vgpr26_vgpr27
.LBB6_216:
	s_andn2_saveexec_b64 s[0:1], s[6:7]
; %bb.217:
	s_movk_i32 s6, 0x7f
	v_or_b32_sdwa v1, v1, s6 dst_sel:DWORD dst_unused:UNUSED_PAD src0_sel:BYTE_3 src1_sel:DWORD
	v_cmp_eq_u64_e32 vcc, 0, v[26:27]
	v_cndmask_b32_e32 v4, v1, v4, vcc
; %bb.218:
	s_or_b64 exec, exec, s[0:1]
	v_and_b32_e32 v2, 0xffff0000, v2
	v_and_b32_e32 v1, 0xffff0000, v6
	v_mul_f32_e32 v2, v19, v2
	v_fmac_f32_e32 v2, v18, v1
	v_mul_f32_e32 v1, v32, v2
	v_min_f32_e32 v1, 0x43e00000, v1
	v_max_f32_e32 v1, 0xc3e00000, v1
	v_mov_b32_e32 v27, 0
	s_movk_i32 s0, 0x80
	v_and_b32_sdwa v2, v1, s0 dst_sel:DWORD dst_unused:UNUSED_PAD src0_sel:BYTE_3 src1_sel:DWORD
	v_and_b32_e32 v28, 0x7f800000, v1
	v_mov_b32_e32 v29, v27
	s_mov_b64 s[0:1], 0x7f800000
	v_and_b32_e32 v26, 0x7fffff, v1
	v_or_b32_e32 v24, 0x7e, v2
	v_cmp_ne_u64_e32 vcc, s[0:1], v[28:29]
	s_and_saveexec_b64 s[0:1], vcc
	s_xor_b64 s[6:7], exec, s[0:1]
	s_cbranch_execz .LBB6_232
; %bb.219:
	v_and_b32_e32 v28, 0x7fffffff, v1
	v_mov_b32_e32 v29, v27
	s_mov_b64 s[0:1], 0x43e00001
	v_cmp_gt_u64_e32 vcc, s[0:1], v[28:29]
	s_and_saveexec_b64 s[0:1], vcc
	s_xor_b64 s[8:9], exec, s[0:1]
	s_cbranch_execz .LBB6_231
; %bb.220:
	v_cmp_ne_u32_e32 vcc, 0, v1
	v_pk_mov_b32 v[24:25], 0, 0
	s_and_saveexec_b64 s[12:13], vcc
	s_cbranch_execz .LBB6_230
; %bb.221:
	v_bfe_u32 v1, v1, 23, 8
	s_movk_i32 s0, 0x79
	v_sub_u32_e64 v5, s0, v1 clamp
	v_mov_b32_e32 v15, 0x78
	v_cmp_eq_u32_e32 vcc, 0, v1
	v_add_u32_e32 v13, 0xffffff88, v1
	v_cndmask_b32_e32 v1, v5, v15, vcc
	v_add_u32_e32 v5, 20, v1
	v_lshlrev_b64 v[24:25], v5, -1
	v_or_b32_e32 v6, 0x800000, v26
	v_not_b32_e32 v5, v25
	v_cndmask_b32_e32 v26, v6, v26, vcc
	v_not_b32_e32 v6, v24
	v_and_b32_e32 v25, 0, v5
	v_add_u32_e32 v5, 19, v1
	v_and_b32_e32 v24, v26, v6
	v_lshlrev_b64 v[28:29], v5, 1
	v_cmp_eq_u64_e64 s[0:1], v[24:25], v[28:29]
	v_lshrrev_b64 v[24:25], v1, v[26:27]
	v_mov_b32_e32 v5, 0xffffff89
	v_and_b32_e32 v26, 0x100000, v24
	v_mov_b32_e32 v27, 0
	v_cndmask_b32_e32 v5, v13, v5, vcc
	v_cmp_eq_u64_e32 vcc, 0, v[26:27]
	v_lshrrev_b32_e32 v6, 23, v24
	s_and_b64 vcc, vcc, s[0:1]
	v_add3_u32 v5, v5, v1, v6
	v_subbrev_co_u32_e32 v1, vcc, 0, v24, vcc
	v_and_b32_e32 v1, 0xfffff, v1
	v_add_co_u32_e32 v24, vcc, v1, v24
	v_add_u32_e32 v6, -1, v5
	v_addc_co_u32_e32 v25, vcc, 0, v25, vcc
	v_cmp_ne_u32_e32 vcc, 0, v6
                                        ; implicit-def: $vgpr1
	s_and_saveexec_b64 s[0:1], vcc
	s_xor_b64 s[0:1], exec, s[0:1]
; %bb.222:
	v_and_b32_e32 v26, 0x1000000, v24
	v_cmp_eq_u64_e32 vcc, 0, v[26:27]
	v_cndmask_b32_e32 v1, v5, v6, vcc
	v_bfe_u32 v5, v24, 24, 1
	v_lshrrev_b64 v[24:25], v5, v[24:25]
; %bb.223:
	s_andn2_saveexec_b64 s[0:1], s[0:1]
; %bb.224:
	v_bfe_u32 v1, v24, 23, 1
; %bb.225:
	s_or_b64 exec, exec, s[0:1]
	v_lshrrev_b64 v[24:25], 20, v[24:25]
	v_cmp_gt_i32_e32 vcc, 16, v1
	v_cndmask_b32_e32 v27, 0, v25, vcc
	v_cndmask_b32_e32 v26, 7, v24, vcc
	v_cmp_ne_u32_e32 vcc, 0, v1
	v_cmp_ne_u64_e64 s[0:1], 0, v[26:27]
	s_or_b64 s[0:1], vcc, s[0:1]
                                        ; implicit-def: $vgpr24_vgpr25
	s_and_saveexec_b64 s[14:15], s[0:1]
	s_xor_b64 s[0:1], exec, s[14:15]
; %bb.226:
	v_min_i32_e32 v1, 15, v1
	v_lshl_or_b32 v1, v1, 3, v2
	v_and_or_b32 v24, v26, 7, v1
                                        ; implicit-def: $vgpr2
; %bb.227:
	s_andn2_saveexec_b64 s[0:1], s[0:1]
; %bb.228:
	v_pk_mov_b32 v[24:25], v[2:3], v[2:3] op_sel:[0,1]
; %bb.229:
	s_or_b64 exec, exec, s[0:1]
.LBB6_230:
	s_or_b64 exec, exec, s[12:13]
.LBB6_231:
	s_andn2_saveexec_b64 s[0:1], s[8:9]
	s_or_b64 exec, exec, s[0:1]
                                        ; implicit-def: $vgpr1
                                        ; implicit-def: $vgpr26_vgpr27
.LBB6_232:
	s_andn2_saveexec_b64 s[0:1], s[6:7]
; %bb.233:
	s_movk_i32 s6, 0x7f
	v_or_b32_sdwa v1, v1, s6 dst_sel:DWORD dst_unused:UNUSED_PAD src0_sel:BYTE_3 src1_sel:DWORD
	v_cmp_eq_u64_e32 vcc, 0, v[26:27]
	v_cndmask_b32_e32 v24, v1, v24, vcc
; %bb.234:
	s_or_b64 exec, exec, s[0:1]
	v_lshlrev_b32_e32 v2, 16, v3
	v_lshlrev_b32_e32 v1, 16, v7
	v_mul_f32_e32 v2, v19, v2
	v_fmac_f32_e32 v2, v18, v1
	v_mul_f32_e32 v1, v32, v2
	v_min_f32_e32 v1, 0x43e00000, v1
	v_max_f32_e32 v1, 0xc3e00000, v1
	v_mov_b32_e32 v29, 0
	s_movk_i32 s0, 0x80
	v_and_b32_sdwa v2, v1, s0 dst_sel:DWORD dst_unused:UNUSED_PAD src0_sel:BYTE_3 src1_sel:DWORD
	v_and_b32_e32 v34, 0x7f800000, v1
	v_mov_b32_e32 v35, v29
	s_mov_b64 s[0:1], 0x7f800000
	v_and_b32_e32 v28, 0x7fffff, v1
	v_or_b32_e32 v26, 0x7e, v2
	v_cmp_ne_u64_e32 vcc, s[0:1], v[34:35]
	s_and_saveexec_b64 s[0:1], vcc
	s_xor_b64 s[6:7], exec, s[0:1]
	s_cbranch_execz .LBB6_248
; %bb.235:
	v_and_b32_e32 v34, 0x7fffffff, v1
	v_mov_b32_e32 v35, v29
	s_mov_b64 s[0:1], 0x43e00001
	v_cmp_gt_u64_e32 vcc, s[0:1], v[34:35]
	s_and_saveexec_b64 s[0:1], vcc
	s_xor_b64 s[8:9], exec, s[0:1]
	s_cbranch_execz .LBB6_247
; %bb.236:
	v_cmp_ne_u32_e32 vcc, 0, v1
	v_pk_mov_b32 v[26:27], 0, 0
	s_and_saveexec_b64 s[12:13], vcc
	s_cbranch_execz .LBB6_246
; %bb.237:
	v_bfe_u32 v1, v1, 23, 8
	s_movk_i32 s0, 0x79
	v_sub_u32_e64 v5, s0, v1 clamp
	v_mov_b32_e32 v15, 0x78
	v_cmp_eq_u32_e32 vcc, 0, v1
	v_add_u32_e32 v13, 0xffffff88, v1
	v_cndmask_b32_e32 v1, v5, v15, vcc
	v_add_u32_e32 v5, 20, v1
	v_lshlrev_b64 v[26:27], v5, -1
	v_or_b32_e32 v6, 0x800000, v28
	v_not_b32_e32 v5, v27
	v_cndmask_b32_e32 v28, v6, v28, vcc
	v_not_b32_e32 v6, v26
	v_and_b32_e32 v27, 0, v5
	v_add_u32_e32 v5, 19, v1
	v_and_b32_e32 v26, v28, v6
	v_lshlrev_b64 v[34:35], v5, 1
	v_cmp_eq_u64_e64 s[0:1], v[26:27], v[34:35]
	v_lshrrev_b64 v[26:27], v1, v[28:29]
	v_mov_b32_e32 v5, 0xffffff89
	v_and_b32_e32 v28, 0x100000, v26
	v_mov_b32_e32 v29, 0
	v_cndmask_b32_e32 v5, v13, v5, vcc
	v_cmp_eq_u64_e32 vcc, 0, v[28:29]
	v_lshrrev_b32_e32 v6, 23, v26
	s_and_b64 vcc, vcc, s[0:1]
	v_add3_u32 v5, v5, v1, v6
	v_subbrev_co_u32_e32 v1, vcc, 0, v26, vcc
	v_and_b32_e32 v1, 0xfffff, v1
	v_add_co_u32_e32 v26, vcc, v1, v26
	v_add_u32_e32 v6, -1, v5
	v_addc_co_u32_e32 v27, vcc, 0, v27, vcc
	v_cmp_ne_u32_e32 vcc, 0, v6
                                        ; implicit-def: $vgpr1
	s_and_saveexec_b64 s[0:1], vcc
	s_xor_b64 s[0:1], exec, s[0:1]
; %bb.238:
	v_and_b32_e32 v28, 0x1000000, v26
	v_cmp_eq_u64_e32 vcc, 0, v[28:29]
	v_cndmask_b32_e32 v1, v5, v6, vcc
	v_bfe_u32 v5, v26, 24, 1
	v_lshrrev_b64 v[26:27], v5, v[26:27]
; %bb.239:
	s_andn2_saveexec_b64 s[0:1], s[0:1]
; %bb.240:
	v_bfe_u32 v1, v26, 23, 1
; %bb.241:
	s_or_b64 exec, exec, s[0:1]
	v_lshrrev_b64 v[26:27], 20, v[26:27]
	v_cmp_gt_i32_e32 vcc, 16, v1
	v_cndmask_b32_e32 v29, 0, v27, vcc
	v_cndmask_b32_e32 v28, 7, v26, vcc
	v_cmp_ne_u32_e32 vcc, 0, v1
	v_cmp_ne_u64_e64 s[0:1], 0, v[28:29]
	s_or_b64 s[0:1], vcc, s[0:1]
                                        ; implicit-def: $vgpr26_vgpr27
	s_and_saveexec_b64 s[14:15], s[0:1]
	s_xor_b64 s[0:1], exec, s[14:15]
; %bb.242:
	v_min_i32_e32 v1, 15, v1
	v_lshl_or_b32 v1, v1, 3, v2
	v_and_or_b32 v26, v28, 7, v1
                                        ; implicit-def: $vgpr2
; %bb.243:
	s_andn2_saveexec_b64 s[0:1], s[0:1]
; %bb.244:
	v_pk_mov_b32 v[26:27], v[2:3], v[2:3] op_sel:[0,1]
; %bb.245:
	s_or_b64 exec, exec, s[0:1]
.LBB6_246:
	s_or_b64 exec, exec, s[12:13]
.LBB6_247:
	s_andn2_saveexec_b64 s[0:1], s[8:9]
	s_or_b64 exec, exec, s[0:1]
                                        ; implicit-def: $vgpr1
                                        ; implicit-def: $vgpr28_vgpr29
.LBB6_248:
	s_andn2_saveexec_b64 s[0:1], s[6:7]
; %bb.249:
	s_movk_i32 s6, 0x7f
	v_or_b32_sdwa v1, v1, s6 dst_sel:DWORD dst_unused:UNUSED_PAD src0_sel:BYTE_3 src1_sel:DWORD
	v_cmp_eq_u64_e32 vcc, 0, v[28:29]
	v_cndmask_b32_e32 v26, v1, v26, vcc
; %bb.250:
	s_or_b64 exec, exec, s[0:1]
	v_and_b32_e32 v2, 0xffff0000, v3
	v_and_b32_e32 v1, 0xffff0000, v7
	v_mul_f32_e32 v2, v19, v2
	v_fmac_f32_e32 v2, v18, v1
	v_mul_f32_e32 v1, v32, v2
	v_min_f32_e32 v1, 0x43e00000, v1
	v_max_f32_e32 v1, 0xc3e00000, v1
	v_mov_b32_e32 v19, 0
	s_movk_i32 s0, 0x80
	v_and_b32_sdwa v2, v1, s0 dst_sel:DWORD dst_unused:UNUSED_PAD src0_sel:BYTE_3 src1_sel:DWORD
	v_and_b32_e32 v28, 0x7f800000, v1
	v_mov_b32_e32 v29, v19
	s_mov_b64 s[0:1], 0x7f800000
	v_and_b32_e32 v18, 0x7fffff, v1
	v_or_b32_e32 v6, 0x7e, v2
	v_cmp_ne_u64_e32 vcc, s[0:1], v[28:29]
	s_and_saveexec_b64 s[0:1], vcc
	s_xor_b64 s[6:7], exec, s[0:1]
	s_cbranch_execz .LBB6_264
; %bb.251:
	v_and_b32_e32 v28, 0x7fffffff, v1
	v_mov_b32_e32 v29, v19
	s_mov_b64 s[0:1], 0x43e00001
	v_cmp_gt_u64_e32 vcc, s[0:1], v[28:29]
	s_and_saveexec_b64 s[0:1], vcc
	s_xor_b64 s[8:9], exec, s[0:1]
	s_cbranch_execz .LBB6_263
; %bb.252:
	v_cmp_ne_u32_e32 vcc, 0, v1
	v_pk_mov_b32 v[6:7], 0, 0
	s_and_saveexec_b64 s[12:13], vcc
	s_cbranch_execz .LBB6_262
; %bb.253:
	v_bfe_u32 v1, v1, 23, 8
	s_movk_i32 s0, 0x79
	v_sub_u32_e64 v3, s0, v1 clamp
	v_mov_b32_e32 v6, 0x78
	v_cmp_eq_u32_e32 vcc, 0, v1
	v_add_u32_e32 v13, 0xffffff88, v1
	v_cndmask_b32_e32 v1, v3, v6, vcc
	v_add_u32_e32 v3, 20, v1
	v_lshlrev_b64 v[6:7], v3, -1
	v_or_b32_e32 v5, 0x800000, v18
	v_not_b32_e32 v3, v7
	v_cndmask_b32_e32 v18, v5, v18, vcc
	v_not_b32_e32 v5, v6
	v_and_b32_e32 v7, 0, v3
	v_add_u32_e32 v3, 19, v1
	v_and_b32_e32 v6, v18, v5
	v_lshlrev_b64 v[28:29], v3, 1
	v_cmp_eq_u64_e64 s[0:1], v[6:7], v[28:29]
	v_lshrrev_b64 v[6:7], v1, v[18:19]
	v_mov_b32_e32 v3, 0xffffff89
	v_and_b32_e32 v18, 0x100000, v6
	v_mov_b32_e32 v19, 0
	v_cndmask_b32_e32 v3, v13, v3, vcc
	v_cmp_eq_u64_e32 vcc, 0, v[18:19]
	v_lshrrev_b32_e32 v5, 23, v6
	s_and_b64 vcc, vcc, s[0:1]
	v_add3_u32 v3, v3, v1, v5
	v_subbrev_co_u32_e32 v1, vcc, 0, v6, vcc
	v_and_b32_e32 v1, 0xfffff, v1
	v_add_co_u32_e32 v6, vcc, v1, v6
	v_add_u32_e32 v5, -1, v3
	v_addc_co_u32_e32 v7, vcc, 0, v7, vcc
	v_cmp_ne_u32_e32 vcc, 0, v5
                                        ; implicit-def: $vgpr1
	s_and_saveexec_b64 s[0:1], vcc
	s_xor_b64 s[0:1], exec, s[0:1]
; %bb.254:
	v_and_b32_e32 v18, 0x1000000, v6
	v_cmp_eq_u64_e32 vcc, 0, v[18:19]
	v_cndmask_b32_e32 v1, v3, v5, vcc
	v_bfe_u32 v3, v6, 24, 1
	v_lshrrev_b64 v[6:7], v3, v[6:7]
; %bb.255:
	s_andn2_saveexec_b64 s[0:1], s[0:1]
; %bb.256:
	v_bfe_u32 v1, v6, 23, 1
; %bb.257:
	s_or_b64 exec, exec, s[0:1]
	v_lshrrev_b64 v[6:7], 20, v[6:7]
	v_cmp_gt_i32_e32 vcc, 16, v1
	v_cndmask_b32_e32 v19, 0, v7, vcc
	v_cndmask_b32_e32 v18, 7, v6, vcc
	v_cmp_ne_u32_e32 vcc, 0, v1
	v_cmp_ne_u64_e64 s[0:1], 0, v[18:19]
	s_or_b64 s[0:1], vcc, s[0:1]
                                        ; implicit-def: $vgpr6_vgpr7
	s_and_saveexec_b64 s[14:15], s[0:1]
	s_xor_b64 s[0:1], exec, s[14:15]
; %bb.258:
	v_min_i32_e32 v1, 15, v1
	v_lshl_or_b32 v1, v1, 3, v2
	v_and_or_b32 v6, v18, 7, v1
                                        ; implicit-def: $vgpr2
; %bb.259:
	s_andn2_saveexec_b64 s[0:1], s[0:1]
; %bb.260:
	v_pk_mov_b32 v[6:7], v[2:3], v[2:3] op_sel:[0,1]
; %bb.261:
	s_or_b64 exec, exec, s[0:1]
.LBB6_262:
	s_or_b64 exec, exec, s[12:13]
.LBB6_263:
	s_andn2_saveexec_b64 s[0:1], s[8:9]
	s_or_b64 exec, exec, s[0:1]
                                        ; implicit-def: $vgpr1
                                        ; implicit-def: $vgpr18_vgpr19
.LBB6_264:
	s_andn2_saveexec_b64 s[0:1], s[6:7]
; %bb.265:
	s_movk_i32 s6, 0x7f
	v_or_b32_sdwa v1, v1, s6 dst_sel:DWORD dst_unused:UNUSED_PAD src0_sel:BYTE_3 src1_sel:DWORD
	v_cmp_eq_u64_e32 vcc, 0, v[18:19]
	v_cndmask_b32_e32 v6, v1, v6, vcc
; %bb.266:
	s_or_b64 exec, exec, s[0:1]
	v_lshlrev_b32_e32 v5, 16, v26
	v_lshlrev_b32_e32 v1, 24, v6
	v_and_b32_e32 v5, 0xff0000, v5
	v_or_b32_e32 v1, v1, v5
	v_lshlrev_b32_e32 v5, 8, v24
	v_and_b32_e32 v5, 0xff00, v5
	v_and_b32_e32 v4, 0xff, v4
	v_or3_b32 v1, v1, v5, v4
	v_lshlrev_b32_e32 v4, 16, v22
	s_mov_b32 s1, 0x4020c0c
	v_lshlrev_b64 v[2:3], 3, v[8:9]
	s_mov_b32 s0, 0xff00
	v_lshlrev_b32_e32 v5, 8, v20
	v_perm_b32 v0, v0, v4, s1
	v_add_co_u32_e32 v2, vcc, v30, v2
	v_and_or_b32 v0, v5, s0, v0
	v_addc_co_u32_e32 v3, vcc, v31, v3, vcc
	v_or_b32_sdwa v0, v0, v16 dst_sel:DWORD dst_unused:UNUSED_PAD src0_sel:DWORD src1_sel:BYTE_0
	global_store_dwordx2 v[2:3], v[0:1], off
.LBB6_267:
	s_or_b64 exec, exec, s[4:5]
	s_cmp_lg_u64 s[10:11], 0
	s_cselect_b64 s[0:1], -1, 0
	v_cmp_eq_u32_e32 vcc, 0, v8
	s_and_b64 s[0:1], s[0:1], vcc
	s_and_saveexec_b64 s[4:5], s[0:1]
	s_cbranch_execz .LBB6_269
; %bb.268:
	s_mov_b32 s0, 0x800000
	v_mov_b32_e32 v0, 0x4f800000
	v_cmp_gt_f32_e32 vcc, s0, v14
	v_cndmask_b32_e32 v0, 1.0, v0, vcc
	v_mul_f32_e32 v0, v14, v0
	v_log_f32_e32 v2, v0
	v_mov_b32_e32 v1, s11
	v_add_co_u32_e64 v0, s[0:1], s10, v10
	v_addc_co_u32_e64 v1, s[0:1], v1, v11, s[0:1]
	s_mov_b32 s0, 0x3f317217
	v_mul_f32_e32 v3, 0x3f317217, v2
	v_fma_f32 v4, v2, s0, -v3
	v_fmac_f32_e32 v4, 0x3377d1cf, v2
	s_mov_b32 s0, 0x7f800000
	v_add_f32_e32 v3, v3, v4
	v_cmp_lt_f32_e64 s[0:1], |v2|, s0
	v_cndmask_b32_e64 v2, v2, v3, s[0:1]
	v_mov_b32_e32 v3, 0x41b17218
	v_cndmask_b32_e32 v3, 0, v3, vcc
	v_sub_f32_e32 v2, v2, v3
	v_add_f32_e32 v2, v12, v2
	global_store_dword v[0:1], v2, off
.LBB6_269:
	s_or_b64 exec, exec, s[4:5]
                                        ; implicit-def: $vgpr12
                                        ; implicit-def: $vgpr10_vgpr11
                                        ; implicit-def: $vgpr4
                                        ; implicit-def: $vgpr5
                                        ; implicit-def: $vgpr8
                                        ; implicit-def: $vgpr6
                                        ; implicit-def: $vgpr32
                                        ; implicit-def: $vgpr30
                                        ; implicit-def: $vgpr31
.LBB6_270:
	s_andn2_saveexec_b64 s[0:1], s[2:3]
	s_cbranch_execz .LBB6_403
; %bb.271:
	v_cmp_gt_u32_e32 vcc, s18, v6
	s_and_saveexec_b64 s[2:3], vcc
	s_cbranch_execz .LBB6_401
; %bb.272:
	v_mov_b32_e32 v9, 0
	v_lshlrev_b64 v[0:1], 4, v[8:9]
	v_add_co_u32_e32 v0, vcc, v4, v0
	v_addc_co_u32_e32 v1, vcc, v5, v1, vcc
	global_load_dwordx4 v[0:3], v[0:1], off
	s_movk_i32 s4, 0x80
	s_mov_b64 s[0:1], 0x7f800000
	v_mov_b32_e32 v17, v9
	v_mov_b32_e32 v15, v9
	s_waitcnt vmcnt(0)
	v_lshlrev_b32_e32 v4, 16, v0
	v_mul_f32_e32 v4, v32, v4
	v_min_f32_e32 v4, 0x43e00000, v4
	v_max_f32_e32 v7, 0xc3e00000, v4
	v_and_b32_sdwa v6, v7, s4 dst_sel:DWORD dst_unused:UNUSED_PAD src0_sel:BYTE_3 src1_sel:DWORD
	v_and_b32_e32 v16, 0x7f800000, v7
	v_and_b32_e32 v14, 0x7fffff, v7
	v_or_b32_e32 v4, 0x7e, v6
	v_cmp_ne_u64_e32 vcc, s[0:1], v[16:17]
	s_and_saveexec_b64 s[0:1], vcc
	s_xor_b64 s[4:5], exec, s[0:1]
	s_cbranch_execz .LBB6_286
; %bb.273:
	v_and_b32_e32 v16, 0x7fffffff, v7
	v_mov_b32_e32 v17, v9
	s_mov_b64 s[0:1], 0x43e00001
	v_cmp_gt_u64_e32 vcc, s[0:1], v[16:17]
	s_and_saveexec_b64 s[0:1], vcc
	s_xor_b64 s[6:7], exec, s[0:1]
	s_cbranch_execz .LBB6_285
; %bb.274:
	v_cmp_ne_u32_e32 vcc, 0, v7
	v_pk_mov_b32 v[4:5], 0, 0
	s_and_saveexec_b64 s[8:9], vcc
	s_cbranch_execz .LBB6_284
; %bb.275:
	v_bfe_u32 v4, v7, 23, 8
	s_movk_i32 s0, 0x79
	v_sub_u32_e64 v5, s0, v4 clamp
	v_mov_b32_e32 v16, 0x78
	v_cmp_eq_u32_e32 vcc, 0, v4
	v_cndmask_b32_e32 v18, v5, v16, vcc
	v_add_u32_e32 v13, 0xffffff88, v4
	v_add_u32_e32 v4, 20, v18
	v_or_b32_e32 v7, 0x800000, v14
	v_lshlrev_b64 v[4:5], v4, -1
	v_cndmask_b32_e32 v14, v7, v14, vcc
	v_not_b32_e32 v5, v5
	v_not_b32_e32 v4, v4
	v_add_u32_e32 v7, 19, v18
	v_and_b32_e32 v5, 0, v5
	v_and_b32_e32 v4, v14, v4
	v_lshlrev_b64 v[16:17], v7, 1
	v_cmp_eq_u64_e64 s[0:1], v[4:5], v[16:17]
	v_lshrrev_b64 v[4:5], v18, v[14:15]
	v_mov_b32_e32 v7, 0xffffff89
	v_and_b32_e32 v14, 0x100000, v4
	v_mov_b32_e32 v15, 0
	v_cndmask_b32_e32 v7, v13, v7, vcc
	v_cmp_eq_u64_e32 vcc, 0, v[14:15]
	v_lshrrev_b32_e32 v13, 23, v4
	s_and_b64 vcc, vcc, s[0:1]
	v_add3_u32 v13, v7, v18, v13
	v_subbrev_co_u32_e32 v7, vcc, 0, v4, vcc
	v_and_b32_e32 v7, 0xfffff, v7
	v_add_co_u32_e32 v4, vcc, v7, v4
	v_add_u32_e32 v16, -1, v13
	v_addc_co_u32_e32 v5, vcc, 0, v5, vcc
	v_cmp_ne_u32_e32 vcc, 0, v16
                                        ; implicit-def: $vgpr7
	s_and_saveexec_b64 s[0:1], vcc
	s_xor_b64 s[0:1], exec, s[0:1]
; %bb.276:
	v_and_b32_e32 v14, 0x1000000, v4
	v_cmp_eq_u64_e32 vcc, 0, v[14:15]
	v_cndmask_b32_e32 v7, v13, v16, vcc
	v_bfe_u32 v13, v4, 24, 1
	v_lshrrev_b64 v[4:5], v13, v[4:5]
; %bb.277:
	s_andn2_saveexec_b64 s[0:1], s[0:1]
; %bb.278:
	v_bfe_u32 v7, v4, 23, 1
; %bb.279:
	s_or_b64 exec, exec, s[0:1]
	v_lshrrev_b64 v[4:5], 20, v[4:5]
	v_cmp_gt_i32_e32 vcc, 16, v7
	v_cndmask_b32_e32 v15, 0, v5, vcc
	v_cndmask_b32_e32 v14, 7, v4, vcc
	v_cmp_ne_u32_e32 vcc, 0, v7
	v_cmp_ne_u64_e64 s[0:1], 0, v[14:15]
	s_or_b64 s[0:1], vcc, s[0:1]
                                        ; implicit-def: $vgpr4_vgpr5
	s_and_saveexec_b64 s[12:13], s[0:1]
	s_xor_b64 s[0:1], exec, s[12:13]
; %bb.280:
	v_min_i32_e32 v4, 15, v7
	v_lshl_or_b32 v4, v4, 3, v6
	v_and_or_b32 v4, v14, 7, v4
                                        ; implicit-def: $vgpr6
; %bb.281:
	s_andn2_saveexec_b64 s[0:1], s[0:1]
; %bb.282:
	v_pk_mov_b32 v[4:5], v[6:7], v[6:7] op_sel:[0,1]
; %bb.283:
	s_or_b64 exec, exec, s[0:1]
.LBB6_284:
	s_or_b64 exec, exec, s[8:9]
.LBB6_285:
	s_andn2_saveexec_b64 s[0:1], s[6:7]
	s_or_b64 exec, exec, s[0:1]
                                        ; implicit-def: $vgpr7
                                        ; implicit-def: $vgpr14_vgpr15
.LBB6_286:
	s_andn2_saveexec_b64 s[0:1], s[4:5]
; %bb.287:
	s_movk_i32 s4, 0x7f
	v_or_b32_sdwa v5, v7, s4 dst_sel:DWORD dst_unused:UNUSED_PAD src0_sel:BYTE_3 src1_sel:DWORD
	v_cmp_eq_u64_e32 vcc, 0, v[14:15]
	v_cndmask_b32_e32 v4, v5, v4, vcc
; %bb.288:
	s_or_b64 exec, exec, s[0:1]
	v_and_b32_e32 v0, 0xffff0000, v0
	v_mul_f32_e32 v0, v32, v0
	v_min_f32_e32 v0, 0x43e00000, v0
	v_max_f32_e32 v5, 0xc3e00000, v0
	v_mov_b32_e32 v15, 0
	s_movk_i32 s0, 0x80
	v_and_b32_sdwa v0, v5, s0 dst_sel:DWORD dst_unused:UNUSED_PAD src0_sel:BYTE_3 src1_sel:DWORD
	v_and_b32_e32 v16, 0x7f800000, v5
	v_mov_b32_e32 v17, v15
	s_mov_b64 s[0:1], 0x7f800000
	v_and_b32_e32 v14, 0x7fffff, v5
	v_or_b32_e32 v6, 0x7e, v0
	v_cmp_ne_u64_e32 vcc, s[0:1], v[16:17]
	s_and_saveexec_b64 s[0:1], vcc
	s_xor_b64 s[4:5], exec, s[0:1]
	s_cbranch_execz .LBB6_302
; %bb.289:
	v_and_b32_e32 v16, 0x7fffffff, v5
	v_mov_b32_e32 v17, v15
	s_mov_b64 s[0:1], 0x43e00001
	v_cmp_gt_u64_e32 vcc, s[0:1], v[16:17]
	s_and_saveexec_b64 s[0:1], vcc
	s_xor_b64 s[6:7], exec, s[0:1]
	s_cbranch_execz .LBB6_301
; %bb.290:
	v_cmp_ne_u32_e32 vcc, 0, v5
	v_pk_mov_b32 v[6:7], 0, 0
	s_and_saveexec_b64 s[8:9], vcc
	s_cbranch_execz .LBB6_300
; %bb.291:
	v_bfe_u32 v5, v5, 23, 8
	s_movk_i32 s0, 0x79
	v_sub_u32_e64 v6, s0, v5 clamp
	v_mov_b32_e32 v16, 0x78
	v_cmp_eq_u32_e32 vcc, 0, v5
	v_add_u32_e32 v13, 0xffffff88, v5
	v_cndmask_b32_e32 v5, v6, v16, vcc
	v_or_b32_e32 v7, 0x800000, v14
	v_add_u32_e32 v6, 20, v5
	v_cndmask_b32_e32 v14, v7, v14, vcc
	v_lshlrev_b64 v[6:7], v6, -1
	v_not_b32_e32 v7, v7
	v_not_b32_e32 v6, v6
	v_add_u32_e32 v16, 19, v5
	v_and_b32_e32 v7, 0, v7
	v_and_b32_e32 v6, v14, v6
	v_lshlrev_b64 v[16:17], v16, 1
	v_cmp_eq_u64_e64 s[0:1], v[6:7], v[16:17]
	v_lshrrev_b64 v[6:7], v5, v[14:15]
	v_mov_b32_e32 v14, 0xffffff89
	v_cndmask_b32_e32 v13, v13, v14, vcc
	v_lshrrev_b32_e32 v14, 23, v6
	v_add3_u32 v13, v13, v5, v14
	v_and_b32_e32 v14, 0x100000, v6
	v_mov_b32_e32 v15, 0
	v_cmp_eq_u64_e32 vcc, 0, v[14:15]
	s_and_b64 vcc, vcc, s[0:1]
	v_subbrev_co_u32_e32 v5, vcc, 0, v6, vcc
	v_and_b32_e32 v5, 0xfffff, v5
	v_add_co_u32_e32 v6, vcc, v5, v6
	v_add_u32_e32 v16, -1, v13
	v_addc_co_u32_e32 v7, vcc, 0, v7, vcc
	v_cmp_ne_u32_e32 vcc, 0, v16
                                        ; implicit-def: $vgpr5
	s_and_saveexec_b64 s[0:1], vcc
	s_xor_b64 s[0:1], exec, s[0:1]
; %bb.292:
	v_and_b32_e32 v14, 0x1000000, v6
	v_cmp_eq_u64_e32 vcc, 0, v[14:15]
	v_cndmask_b32_e32 v5, v13, v16, vcc
	v_bfe_u32 v13, v6, 24, 1
	v_lshrrev_b64 v[6:7], v13, v[6:7]
; %bb.293:
	s_andn2_saveexec_b64 s[0:1], s[0:1]
; %bb.294:
	v_bfe_u32 v5, v6, 23, 1
; %bb.295:
	s_or_b64 exec, exec, s[0:1]
	v_lshrrev_b64 v[6:7], 20, v[6:7]
	v_cmp_gt_i32_e32 vcc, 16, v5
	v_cndmask_b32_e32 v15, 0, v7, vcc
	v_cndmask_b32_e32 v14, 7, v6, vcc
	v_cmp_ne_u32_e32 vcc, 0, v5
	v_cmp_ne_u64_e64 s[0:1], 0, v[14:15]
	s_or_b64 s[0:1], vcc, s[0:1]
                                        ; implicit-def: $vgpr6_vgpr7
	s_and_saveexec_b64 s[12:13], s[0:1]
	s_xor_b64 s[0:1], exec, s[12:13]
; %bb.296:
	v_min_i32_e32 v5, 15, v5
	v_lshl_or_b32 v0, v5, 3, v0
	v_and_or_b32 v6, v14, 7, v0
                                        ; implicit-def: $vgpr0
; %bb.297:
	s_andn2_saveexec_b64 s[0:1], s[0:1]
; %bb.298:
	v_pk_mov_b32 v[6:7], v[0:1], v[0:1] op_sel:[0,1]
; %bb.299:
	s_or_b64 exec, exec, s[0:1]
.LBB6_300:
	s_or_b64 exec, exec, s[8:9]
.LBB6_301:
	s_andn2_saveexec_b64 s[0:1], s[6:7]
	s_or_b64 exec, exec, s[0:1]
                                        ; implicit-def: $vgpr5
                                        ; implicit-def: $vgpr14_vgpr15
.LBB6_302:
	s_andn2_saveexec_b64 s[0:1], s[4:5]
; %bb.303:
	s_movk_i32 s4, 0x7f
	v_or_b32_sdwa v0, v5, s4 dst_sel:DWORD dst_unused:UNUSED_PAD src0_sel:BYTE_3 src1_sel:DWORD
	v_cmp_eq_u64_e32 vcc, 0, v[14:15]
	v_cndmask_b32_e32 v6, v0, v6, vcc
; %bb.304:
	s_or_b64 exec, exec, s[0:1]
	v_lshlrev_b32_e32 v0, 16, v1
	v_mul_f32_e32 v0, v32, v0
	v_min_f32_e32 v0, 0x43e00000, v0
	v_max_f32_e32 v5, 0xc3e00000, v0
	v_mov_b32_e32 v17, 0
	s_movk_i32 s0, 0x80
	v_and_b32_sdwa v0, v5, s0 dst_sel:DWORD dst_unused:UNUSED_PAD src0_sel:BYTE_3 src1_sel:DWORD
	v_and_b32_e32 v18, 0x7f800000, v5
	v_mov_b32_e32 v19, v17
	s_mov_b64 s[0:1], 0x7f800000
	v_and_b32_e32 v16, 0x7fffff, v5
	v_or_b32_e32 v14, 0x7e, v0
	v_cmp_ne_u64_e32 vcc, s[0:1], v[18:19]
	s_and_saveexec_b64 s[0:1], vcc
	s_xor_b64 s[4:5], exec, s[0:1]
	s_cbranch_execz .LBB6_318
; %bb.305:
	v_and_b32_e32 v18, 0x7fffffff, v5
	v_mov_b32_e32 v19, v17
	s_mov_b64 s[0:1], 0x43e00001
	v_cmp_gt_u64_e32 vcc, s[0:1], v[18:19]
	s_and_saveexec_b64 s[0:1], vcc
	s_xor_b64 s[6:7], exec, s[0:1]
	s_cbranch_execz .LBB6_317
; %bb.306:
	v_cmp_ne_u32_e32 vcc, 0, v5
	v_pk_mov_b32 v[14:15], 0, 0
	s_and_saveexec_b64 s[8:9], vcc
	s_cbranch_execz .LBB6_316
; %bb.307:
	v_bfe_u32 v5, v5, 23, 8
	s_movk_i32 s0, 0x79
	v_sub_u32_e64 v7, s0, v5 clamp
	v_mov_b32_e32 v14, 0x78
	v_cmp_eq_u32_e32 vcc, 0, v5
	v_add_u32_e32 v20, 0xffffff88, v5
	v_cndmask_b32_e32 v5, v7, v14, vcc
	v_add_u32_e32 v7, 20, v5
	v_lshlrev_b64 v[14:15], v7, -1
	v_or_b32_e32 v13, 0x800000, v16
	v_not_b32_e32 v7, v15
	v_cndmask_b32_e32 v16, v13, v16, vcc
	v_not_b32_e32 v13, v14
	v_and_b32_e32 v15, 0, v7
	v_add_u32_e32 v7, 19, v5
	v_and_b32_e32 v14, v16, v13
	v_lshlrev_b64 v[18:19], v7, 1
	v_cmp_eq_u64_e64 s[0:1], v[14:15], v[18:19]
	v_lshrrev_b64 v[14:15], v5, v[16:17]
	v_mov_b32_e32 v7, 0xffffff89
	v_and_b32_e32 v16, 0x100000, v14
	v_mov_b32_e32 v17, 0
	v_cndmask_b32_e32 v7, v20, v7, vcc
	v_cmp_eq_u64_e32 vcc, 0, v[16:17]
	v_lshrrev_b32_e32 v13, 23, v14
	s_and_b64 vcc, vcc, s[0:1]
	v_add3_u32 v7, v7, v5, v13
	v_subbrev_co_u32_e32 v5, vcc, 0, v14, vcc
	v_and_b32_e32 v5, 0xfffff, v5
	v_add_co_u32_e32 v14, vcc, v5, v14
	v_add_u32_e32 v13, -1, v7
	v_addc_co_u32_e32 v15, vcc, 0, v15, vcc
	v_cmp_ne_u32_e32 vcc, 0, v13
                                        ; implicit-def: $vgpr5
	s_and_saveexec_b64 s[0:1], vcc
	s_xor_b64 s[0:1], exec, s[0:1]
; %bb.308:
	v_and_b32_e32 v16, 0x1000000, v14
	v_cmp_eq_u64_e32 vcc, 0, v[16:17]
	v_cndmask_b32_e32 v5, v7, v13, vcc
	v_bfe_u32 v7, v14, 24, 1
	v_lshrrev_b64 v[14:15], v7, v[14:15]
; %bb.309:
	s_andn2_saveexec_b64 s[0:1], s[0:1]
; %bb.310:
	v_bfe_u32 v5, v14, 23, 1
; %bb.311:
	s_or_b64 exec, exec, s[0:1]
	v_lshrrev_b64 v[14:15], 20, v[14:15]
	v_cmp_gt_i32_e32 vcc, 16, v5
	v_cndmask_b32_e32 v17, 0, v15, vcc
	v_cndmask_b32_e32 v16, 7, v14, vcc
	v_cmp_ne_u32_e32 vcc, 0, v5
	v_cmp_ne_u64_e64 s[0:1], 0, v[16:17]
	s_or_b64 s[0:1], vcc, s[0:1]
                                        ; implicit-def: $vgpr14_vgpr15
	s_and_saveexec_b64 s[12:13], s[0:1]
	s_xor_b64 s[0:1], exec, s[12:13]
; %bb.312:
	v_min_i32_e32 v5, 15, v5
	v_lshl_or_b32 v0, v5, 3, v0
	v_and_or_b32 v14, v16, 7, v0
                                        ; implicit-def: $vgpr0
; %bb.313:
	s_andn2_saveexec_b64 s[0:1], s[0:1]
; %bb.314:
	v_pk_mov_b32 v[14:15], v[0:1], v[0:1] op_sel:[0,1]
; %bb.315:
	s_or_b64 exec, exec, s[0:1]
.LBB6_316:
	s_or_b64 exec, exec, s[8:9]
.LBB6_317:
	s_andn2_saveexec_b64 s[0:1], s[6:7]
	s_or_b64 exec, exec, s[0:1]
                                        ; implicit-def: $vgpr5
                                        ; implicit-def: $vgpr16_vgpr17
.LBB6_318:
	s_andn2_saveexec_b64 s[0:1], s[4:5]
; %bb.319:
	s_movk_i32 s4, 0x7f
	v_or_b32_sdwa v0, v5, s4 dst_sel:DWORD dst_unused:UNUSED_PAD src0_sel:BYTE_3 src1_sel:DWORD
	v_cmp_eq_u64_e32 vcc, 0, v[16:17]
	v_cndmask_b32_e32 v14, v0, v14, vcc
; %bb.320:
	s_or_b64 exec, exec, s[0:1]
	v_and_b32_e32 v0, 0xffff0000, v1
	v_mul_f32_e32 v0, v32, v0
	v_min_f32_e32 v0, 0x43e00000, v0
	v_max_f32_e32 v5, 0xc3e00000, v0
	v_mov_b32_e32 v19, 0
	s_movk_i32 s0, 0x80
	v_and_b32_sdwa v16, v5, s0 dst_sel:DWORD dst_unused:UNUSED_PAD src0_sel:BYTE_3 src1_sel:DWORD
	v_and_b32_e32 v20, 0x7f800000, v5
	v_mov_b32_e32 v21, v19
	s_mov_b64 s[0:1], 0x7f800000
	v_and_b32_e32 v18, 0x7fffff, v5
	v_or_b32_e32 v0, 0x7e, v16
	v_cmp_ne_u64_e32 vcc, s[0:1], v[20:21]
	s_and_saveexec_b64 s[0:1], vcc
	s_xor_b64 s[4:5], exec, s[0:1]
	s_cbranch_execz .LBB6_334
; %bb.321:
	v_and_b32_e32 v20, 0x7fffffff, v5
	v_mov_b32_e32 v21, v19
	s_mov_b64 s[0:1], 0x43e00001
	v_cmp_gt_u64_e32 vcc, s[0:1], v[20:21]
	s_and_saveexec_b64 s[0:1], vcc
	s_xor_b64 s[6:7], exec, s[0:1]
	s_cbranch_execz .LBB6_333
; %bb.322:
	v_cmp_ne_u32_e32 vcc, 0, v5
	v_pk_mov_b32 v[0:1], 0, 0
	s_and_saveexec_b64 s[8:9], vcc
	s_cbranch_execz .LBB6_332
; %bb.323:
	v_bfe_u32 v0, v5, 23, 8
	s_movk_i32 s0, 0x79
	v_sub_u32_e64 v1, s0, v0 clamp
	v_mov_b32_e32 v13, 0x78
	v_cmp_eq_u32_e32 vcc, 0, v0
	v_cndmask_b32_e32 v13, v1, v13, vcc
	v_add_u32_e32 v7, 0xffffff88, v0
	v_add_u32_e32 v0, 20, v13
	v_or_b32_e32 v5, 0x800000, v18
	v_lshlrev_b64 v[0:1], v0, -1
	v_cndmask_b32_e32 v18, v5, v18, vcc
	v_not_b32_e32 v1, v1
	v_not_b32_e32 v0, v0
	v_add_u32_e32 v5, 19, v13
	v_and_b32_e32 v1, 0, v1
	v_and_b32_e32 v0, v18, v0
	v_lshlrev_b64 v[20:21], v5, 1
	v_cmp_eq_u64_e64 s[0:1], v[0:1], v[20:21]
	v_lshrrev_b64 v[0:1], v13, v[18:19]
	v_mov_b32_e32 v5, 0xffffff89
	v_and_b32_e32 v18, 0x100000, v0
	v_mov_b32_e32 v19, 0
	v_cndmask_b32_e32 v5, v7, v5, vcc
	v_cmp_eq_u64_e32 vcc, 0, v[18:19]
	v_lshrrev_b32_e32 v7, 23, v0
	s_and_b64 vcc, vcc, s[0:1]
	v_add3_u32 v7, v5, v13, v7
	v_subbrev_co_u32_e32 v5, vcc, 0, v0, vcc
	v_and_b32_e32 v5, 0xfffff, v5
	v_add_co_u32_e32 v0, vcc, v5, v0
	v_add_u32_e32 v13, -1, v7
	v_addc_co_u32_e32 v1, vcc, 0, v1, vcc
	v_cmp_ne_u32_e32 vcc, 0, v13
                                        ; implicit-def: $vgpr5
	s_and_saveexec_b64 s[0:1], vcc
	s_xor_b64 s[0:1], exec, s[0:1]
; %bb.324:
	v_and_b32_e32 v18, 0x1000000, v0
	v_cmp_eq_u64_e32 vcc, 0, v[18:19]
	v_cndmask_b32_e32 v5, v7, v13, vcc
	v_bfe_u32 v7, v0, 24, 1
	v_lshrrev_b64 v[0:1], v7, v[0:1]
; %bb.325:
	s_andn2_saveexec_b64 s[0:1], s[0:1]
; %bb.326:
	v_bfe_u32 v5, v0, 23, 1
; %bb.327:
	s_or_b64 exec, exec, s[0:1]
	v_lshrrev_b64 v[0:1], 20, v[0:1]
	v_cmp_gt_i32_e32 vcc, 16, v5
	v_cndmask_b32_e32 v19, 0, v1, vcc
	v_cndmask_b32_e32 v18, 7, v0, vcc
	v_cmp_ne_u32_e32 vcc, 0, v5
	v_cmp_ne_u64_e64 s[0:1], 0, v[18:19]
	s_or_b64 s[0:1], vcc, s[0:1]
                                        ; implicit-def: $vgpr0_vgpr1
	s_and_saveexec_b64 s[12:13], s[0:1]
	s_xor_b64 s[0:1], exec, s[12:13]
; %bb.328:
	v_min_i32_e32 v0, 15, v5
	v_lshl_or_b32 v0, v0, 3, v16
	v_and_or_b32 v0, v18, 7, v0
                                        ; implicit-def: $vgpr16
; %bb.329:
	s_andn2_saveexec_b64 s[0:1], s[0:1]
; %bb.330:
	v_pk_mov_b32 v[0:1], v[16:17], v[16:17] op_sel:[0,1]
; %bb.331:
	s_or_b64 exec, exec, s[0:1]
.LBB6_332:
	s_or_b64 exec, exec, s[8:9]
.LBB6_333:
	s_andn2_saveexec_b64 s[0:1], s[6:7]
	s_or_b64 exec, exec, s[0:1]
                                        ; implicit-def: $vgpr5
                                        ; implicit-def: $vgpr18_vgpr19
.LBB6_334:
	s_andn2_saveexec_b64 s[0:1], s[4:5]
; %bb.335:
	s_movk_i32 s4, 0x7f
	v_or_b32_sdwa v1, v5, s4 dst_sel:DWORD dst_unused:UNUSED_PAD src0_sel:BYTE_3 src1_sel:DWORD
	v_cmp_eq_u64_e32 vcc, 0, v[18:19]
	v_cndmask_b32_e32 v0, v1, v0, vcc
; %bb.336:
	s_or_b64 exec, exec, s[0:1]
	v_lshlrev_b32_e32 v1, 16, v2
	v_mul_f32_e32 v1, v32, v1
	v_min_f32_e32 v1, 0x43e00000, v1
	v_max_f32_e32 v1, 0xc3e00000, v1
	v_mov_b32_e32 v21, 0
	s_movk_i32 s0, 0x80
	v_and_b32_sdwa v18, v1, s0 dst_sel:DWORD dst_unused:UNUSED_PAD src0_sel:BYTE_3 src1_sel:DWORD
	v_and_b32_e32 v22, 0x7f800000, v1
	v_mov_b32_e32 v23, v21
	s_mov_b64 s[0:1], 0x7f800000
	v_and_b32_e32 v20, 0x7fffff, v1
	v_or_b32_e32 v16, 0x7e, v18
	v_cmp_ne_u64_e32 vcc, s[0:1], v[22:23]
	s_and_saveexec_b64 s[0:1], vcc
	s_xor_b64 s[4:5], exec, s[0:1]
	s_cbranch_execz .LBB6_350
; %bb.337:
	v_and_b32_e32 v22, 0x7fffffff, v1
	v_mov_b32_e32 v23, v21
	s_mov_b64 s[0:1], 0x43e00001
	v_cmp_gt_u64_e32 vcc, s[0:1], v[22:23]
	s_and_saveexec_b64 s[0:1], vcc
	s_xor_b64 s[6:7], exec, s[0:1]
	s_cbranch_execz .LBB6_349
; %bb.338:
	v_cmp_ne_u32_e32 vcc, 0, v1
	v_pk_mov_b32 v[16:17], 0, 0
	s_and_saveexec_b64 s[8:9], vcc
	s_cbranch_execz .LBB6_348
; %bb.339:
	v_bfe_u32 v1, v1, 23, 8
	s_movk_i32 s0, 0x79
	v_sub_u32_e64 v5, s0, v1 clamp
	v_mov_b32_e32 v15, 0x78
	v_cmp_eq_u32_e32 vcc, 0, v1
	v_add_u32_e32 v13, 0xffffff88, v1
	v_cndmask_b32_e32 v1, v5, v15, vcc
	v_add_u32_e32 v5, 20, v1
	v_lshlrev_b64 v[16:17], v5, -1
	v_or_b32_e32 v7, 0x800000, v20
	v_not_b32_e32 v5, v17
	v_cndmask_b32_e32 v20, v7, v20, vcc
	v_not_b32_e32 v7, v16
	v_and_b32_e32 v17, 0, v5
	v_add_u32_e32 v5, 19, v1
	v_and_b32_e32 v16, v20, v7
	v_lshlrev_b64 v[22:23], v5, 1
	v_cmp_eq_u64_e64 s[0:1], v[16:17], v[22:23]
	v_lshrrev_b64 v[16:17], v1, v[20:21]
	v_mov_b32_e32 v5, 0xffffff89
	v_and_b32_e32 v20, 0x100000, v16
	v_mov_b32_e32 v21, 0
	v_cndmask_b32_e32 v5, v13, v5, vcc
	v_cmp_eq_u64_e32 vcc, 0, v[20:21]
	v_lshrrev_b32_e32 v7, 23, v16
	s_and_b64 vcc, vcc, s[0:1]
	v_add3_u32 v5, v5, v1, v7
	v_subbrev_co_u32_e32 v1, vcc, 0, v16, vcc
	v_and_b32_e32 v1, 0xfffff, v1
	v_add_co_u32_e32 v16, vcc, v1, v16
	v_add_u32_e32 v7, -1, v5
	v_addc_co_u32_e32 v17, vcc, 0, v17, vcc
	v_cmp_ne_u32_e32 vcc, 0, v7
                                        ; implicit-def: $vgpr1
	s_and_saveexec_b64 s[0:1], vcc
	s_xor_b64 s[0:1], exec, s[0:1]
; %bb.340:
	v_and_b32_e32 v20, 0x1000000, v16
	v_cmp_eq_u64_e32 vcc, 0, v[20:21]
	v_cndmask_b32_e32 v1, v5, v7, vcc
	v_bfe_u32 v5, v16, 24, 1
	v_lshrrev_b64 v[16:17], v5, v[16:17]
; %bb.341:
	s_andn2_saveexec_b64 s[0:1], s[0:1]
; %bb.342:
	v_bfe_u32 v1, v16, 23, 1
; %bb.343:
	s_or_b64 exec, exec, s[0:1]
	v_lshrrev_b64 v[16:17], 20, v[16:17]
	v_cmp_gt_i32_e32 vcc, 16, v1
	v_cndmask_b32_e32 v21, 0, v17, vcc
	v_cndmask_b32_e32 v20, 7, v16, vcc
	v_cmp_ne_u32_e32 vcc, 0, v1
	v_cmp_ne_u64_e64 s[0:1], 0, v[20:21]
	s_or_b64 s[0:1], vcc, s[0:1]
                                        ; implicit-def: $vgpr16_vgpr17
	s_and_saveexec_b64 s[12:13], s[0:1]
	s_xor_b64 s[0:1], exec, s[12:13]
; %bb.344:
	v_min_i32_e32 v1, 15, v1
	v_lshl_or_b32 v1, v1, 3, v18
	v_and_or_b32 v16, v20, 7, v1
                                        ; implicit-def: $vgpr18
; %bb.345:
	s_andn2_saveexec_b64 s[0:1], s[0:1]
; %bb.346:
	v_pk_mov_b32 v[16:17], v[18:19], v[18:19] op_sel:[0,1]
; %bb.347:
	s_or_b64 exec, exec, s[0:1]
.LBB6_348:
	s_or_b64 exec, exec, s[8:9]
.LBB6_349:
	s_andn2_saveexec_b64 s[0:1], s[6:7]
	s_or_b64 exec, exec, s[0:1]
                                        ; implicit-def: $vgpr1
                                        ; implicit-def: $vgpr20_vgpr21
.LBB6_350:
	s_andn2_saveexec_b64 s[0:1], s[4:5]
; %bb.351:
	s_movk_i32 s4, 0x7f
	v_or_b32_sdwa v1, v1, s4 dst_sel:DWORD dst_unused:UNUSED_PAD src0_sel:BYTE_3 src1_sel:DWORD
	v_cmp_eq_u64_e32 vcc, 0, v[20:21]
	v_cndmask_b32_e32 v16, v1, v16, vcc
; %bb.352:
	s_or_b64 exec, exec, s[0:1]
	v_and_b32_e32 v1, 0xffff0000, v2
	v_mul_f32_e32 v1, v32, v1
	v_min_f32_e32 v1, 0x43e00000, v1
	v_max_f32_e32 v1, 0xc3e00000, v1
	v_mov_b32_e32 v21, 0
	s_movk_i32 s0, 0x80
	v_and_b32_sdwa v2, v1, s0 dst_sel:DWORD dst_unused:UNUSED_PAD src0_sel:BYTE_3 src1_sel:DWORD
	v_and_b32_e32 v22, 0x7f800000, v1
	v_mov_b32_e32 v23, v21
	s_mov_b64 s[0:1], 0x7f800000
	v_and_b32_e32 v20, 0x7fffff, v1
	v_or_b32_e32 v18, 0x7e, v2
	v_cmp_ne_u64_e32 vcc, s[0:1], v[22:23]
	s_and_saveexec_b64 s[0:1], vcc
	s_xor_b64 s[4:5], exec, s[0:1]
	s_cbranch_execz .LBB6_366
; %bb.353:
	v_and_b32_e32 v22, 0x7fffffff, v1
	v_mov_b32_e32 v23, v21
	s_mov_b64 s[0:1], 0x43e00001
	v_cmp_gt_u64_e32 vcc, s[0:1], v[22:23]
	s_and_saveexec_b64 s[0:1], vcc
	s_xor_b64 s[6:7], exec, s[0:1]
	s_cbranch_execz .LBB6_365
; %bb.354:
	v_cmp_ne_u32_e32 vcc, 0, v1
	v_pk_mov_b32 v[18:19], 0, 0
	s_and_saveexec_b64 s[8:9], vcc
	s_cbranch_execz .LBB6_364
; %bb.355:
	v_bfe_u32 v1, v1, 23, 8
	s_movk_i32 s0, 0x79
	v_sub_u32_e64 v5, s0, v1 clamp
	v_mov_b32_e32 v15, 0x78
	v_cmp_eq_u32_e32 vcc, 0, v1
	v_add_u32_e32 v13, 0xffffff88, v1
	v_cndmask_b32_e32 v1, v5, v15, vcc
	v_add_u32_e32 v5, 20, v1
	v_lshlrev_b64 v[18:19], v5, -1
	v_or_b32_e32 v7, 0x800000, v20
	v_not_b32_e32 v5, v19
	v_cndmask_b32_e32 v20, v7, v20, vcc
	v_not_b32_e32 v7, v18
	v_and_b32_e32 v19, 0, v5
	v_add_u32_e32 v5, 19, v1
	v_and_b32_e32 v18, v20, v7
	v_lshlrev_b64 v[22:23], v5, 1
	v_cmp_eq_u64_e64 s[0:1], v[18:19], v[22:23]
	v_lshrrev_b64 v[18:19], v1, v[20:21]
	v_mov_b32_e32 v5, 0xffffff89
	v_and_b32_e32 v20, 0x100000, v18
	v_mov_b32_e32 v21, 0
	v_cndmask_b32_e32 v5, v13, v5, vcc
	v_cmp_eq_u64_e32 vcc, 0, v[20:21]
	v_lshrrev_b32_e32 v7, 23, v18
	s_and_b64 vcc, vcc, s[0:1]
	v_add3_u32 v5, v5, v1, v7
	v_subbrev_co_u32_e32 v1, vcc, 0, v18, vcc
	v_and_b32_e32 v1, 0xfffff, v1
	v_add_co_u32_e32 v18, vcc, v1, v18
	v_add_u32_e32 v7, -1, v5
	v_addc_co_u32_e32 v19, vcc, 0, v19, vcc
	v_cmp_ne_u32_e32 vcc, 0, v7
                                        ; implicit-def: $vgpr1
	s_and_saveexec_b64 s[0:1], vcc
	s_xor_b64 s[0:1], exec, s[0:1]
; %bb.356:
	v_and_b32_e32 v20, 0x1000000, v18
	v_cmp_eq_u64_e32 vcc, 0, v[20:21]
	v_cndmask_b32_e32 v1, v5, v7, vcc
	v_bfe_u32 v5, v18, 24, 1
	v_lshrrev_b64 v[18:19], v5, v[18:19]
; %bb.357:
	s_andn2_saveexec_b64 s[0:1], s[0:1]
; %bb.358:
	v_bfe_u32 v1, v18, 23, 1
; %bb.359:
	s_or_b64 exec, exec, s[0:1]
	v_lshrrev_b64 v[18:19], 20, v[18:19]
	v_cmp_gt_i32_e32 vcc, 16, v1
	v_cndmask_b32_e32 v21, 0, v19, vcc
	v_cndmask_b32_e32 v20, 7, v18, vcc
	v_cmp_ne_u32_e32 vcc, 0, v1
	v_cmp_ne_u64_e64 s[0:1], 0, v[20:21]
	s_or_b64 s[0:1], vcc, s[0:1]
                                        ; implicit-def: $vgpr18_vgpr19
	s_and_saveexec_b64 s[12:13], s[0:1]
	s_xor_b64 s[0:1], exec, s[12:13]
; %bb.360:
	v_min_i32_e32 v1, 15, v1
	v_lshl_or_b32 v1, v1, 3, v2
	v_and_or_b32 v18, v20, 7, v1
                                        ; implicit-def: $vgpr2
; %bb.361:
	s_andn2_saveexec_b64 s[0:1], s[0:1]
; %bb.362:
	v_pk_mov_b32 v[18:19], v[2:3], v[2:3] op_sel:[0,1]
; %bb.363:
	s_or_b64 exec, exec, s[0:1]
.LBB6_364:
	s_or_b64 exec, exec, s[8:9]
.LBB6_365:
	s_andn2_saveexec_b64 s[0:1], s[6:7]
	s_or_b64 exec, exec, s[0:1]
                                        ; implicit-def: $vgpr1
                                        ; implicit-def: $vgpr20_vgpr21
.LBB6_366:
	s_andn2_saveexec_b64 s[0:1], s[4:5]
; %bb.367:
	s_movk_i32 s4, 0x7f
	v_or_b32_sdwa v1, v1, s4 dst_sel:DWORD dst_unused:UNUSED_PAD src0_sel:BYTE_3 src1_sel:DWORD
	v_cmp_eq_u64_e32 vcc, 0, v[20:21]
	v_cndmask_b32_e32 v18, v1, v18, vcc
; %bb.368:
	s_or_b64 exec, exec, s[0:1]
	v_lshlrev_b32_e32 v1, 16, v3
	v_mul_f32_e32 v1, v32, v1
	v_min_f32_e32 v1, 0x43e00000, v1
	v_max_f32_e32 v1, 0xc3e00000, v1
	v_mov_b32_e32 v23, 0
	s_movk_i32 s0, 0x80
	v_and_b32_sdwa v2, v1, s0 dst_sel:DWORD dst_unused:UNUSED_PAD src0_sel:BYTE_3 src1_sel:DWORD
	v_and_b32_e32 v24, 0x7f800000, v1
	v_mov_b32_e32 v25, v23
	s_mov_b64 s[0:1], 0x7f800000
	v_and_b32_e32 v22, 0x7fffff, v1
	v_or_b32_e32 v20, 0x7e, v2
	v_cmp_ne_u64_e32 vcc, s[0:1], v[24:25]
	s_and_saveexec_b64 s[0:1], vcc
	s_xor_b64 s[4:5], exec, s[0:1]
	s_cbranch_execz .LBB6_382
; %bb.369:
	v_and_b32_e32 v24, 0x7fffffff, v1
	v_mov_b32_e32 v25, v23
	s_mov_b64 s[0:1], 0x43e00001
	v_cmp_gt_u64_e32 vcc, s[0:1], v[24:25]
	s_and_saveexec_b64 s[0:1], vcc
	s_xor_b64 s[6:7], exec, s[0:1]
	s_cbranch_execz .LBB6_381
; %bb.370:
	v_cmp_ne_u32_e32 vcc, 0, v1
	v_pk_mov_b32 v[20:21], 0, 0
	s_and_saveexec_b64 s[8:9], vcc
	s_cbranch_execz .LBB6_380
; %bb.371:
	v_bfe_u32 v1, v1, 23, 8
	s_movk_i32 s0, 0x79
	v_sub_u32_e64 v5, s0, v1 clamp
	v_mov_b32_e32 v15, 0x78
	v_cmp_eq_u32_e32 vcc, 0, v1
	v_add_u32_e32 v13, 0xffffff88, v1
	v_cndmask_b32_e32 v1, v5, v15, vcc
	v_add_u32_e32 v5, 20, v1
	v_lshlrev_b64 v[20:21], v5, -1
	v_or_b32_e32 v7, 0x800000, v22
	v_not_b32_e32 v5, v21
	v_cndmask_b32_e32 v22, v7, v22, vcc
	v_not_b32_e32 v7, v20
	v_and_b32_e32 v21, 0, v5
	v_add_u32_e32 v5, 19, v1
	v_and_b32_e32 v20, v22, v7
	v_lshlrev_b64 v[24:25], v5, 1
	v_cmp_eq_u64_e64 s[0:1], v[20:21], v[24:25]
	v_lshrrev_b64 v[20:21], v1, v[22:23]
	v_mov_b32_e32 v5, 0xffffff89
	v_and_b32_e32 v22, 0x100000, v20
	v_mov_b32_e32 v23, 0
	v_cndmask_b32_e32 v5, v13, v5, vcc
	v_cmp_eq_u64_e32 vcc, 0, v[22:23]
	v_lshrrev_b32_e32 v7, 23, v20
	s_and_b64 vcc, vcc, s[0:1]
	v_add3_u32 v5, v5, v1, v7
	v_subbrev_co_u32_e32 v1, vcc, 0, v20, vcc
	v_and_b32_e32 v1, 0xfffff, v1
	v_add_co_u32_e32 v20, vcc, v1, v20
	v_add_u32_e32 v7, -1, v5
	v_addc_co_u32_e32 v21, vcc, 0, v21, vcc
	v_cmp_ne_u32_e32 vcc, 0, v7
                                        ; implicit-def: $vgpr1
	s_and_saveexec_b64 s[0:1], vcc
	s_xor_b64 s[0:1], exec, s[0:1]
; %bb.372:
	v_and_b32_e32 v22, 0x1000000, v20
	v_cmp_eq_u64_e32 vcc, 0, v[22:23]
	v_cndmask_b32_e32 v1, v5, v7, vcc
	v_bfe_u32 v5, v20, 24, 1
	v_lshrrev_b64 v[20:21], v5, v[20:21]
; %bb.373:
	s_andn2_saveexec_b64 s[0:1], s[0:1]
; %bb.374:
	v_bfe_u32 v1, v20, 23, 1
; %bb.375:
	s_or_b64 exec, exec, s[0:1]
	v_lshrrev_b64 v[20:21], 20, v[20:21]
	v_cmp_gt_i32_e32 vcc, 16, v1
	v_cndmask_b32_e32 v23, 0, v21, vcc
	v_cndmask_b32_e32 v22, 7, v20, vcc
	v_cmp_ne_u32_e32 vcc, 0, v1
	v_cmp_ne_u64_e64 s[0:1], 0, v[22:23]
	s_or_b64 s[0:1], vcc, s[0:1]
                                        ; implicit-def: $vgpr20_vgpr21
	s_and_saveexec_b64 s[12:13], s[0:1]
	s_xor_b64 s[0:1], exec, s[12:13]
; %bb.376:
	v_min_i32_e32 v1, 15, v1
	v_lshl_or_b32 v1, v1, 3, v2
	v_and_or_b32 v20, v22, 7, v1
                                        ; implicit-def: $vgpr2
; %bb.377:
	s_andn2_saveexec_b64 s[0:1], s[0:1]
; %bb.378:
	v_pk_mov_b32 v[20:21], v[2:3], v[2:3] op_sel:[0,1]
; %bb.379:
	s_or_b64 exec, exec, s[0:1]
.LBB6_380:
	s_or_b64 exec, exec, s[8:9]
.LBB6_381:
	s_andn2_saveexec_b64 s[0:1], s[6:7]
	s_or_b64 exec, exec, s[0:1]
                                        ; implicit-def: $vgpr1
                                        ; implicit-def: $vgpr22_vgpr23
.LBB6_382:
	s_andn2_saveexec_b64 s[0:1], s[4:5]
; %bb.383:
	s_movk_i32 s4, 0x7f
	v_or_b32_sdwa v1, v1, s4 dst_sel:DWORD dst_unused:UNUSED_PAD src0_sel:BYTE_3 src1_sel:DWORD
	v_cmp_eq_u64_e32 vcc, 0, v[22:23]
	v_cndmask_b32_e32 v20, v1, v20, vcc
; %bb.384:
	s_or_b64 exec, exec, s[0:1]
	v_and_b32_e32 v1, 0xffff0000, v3
	v_mul_f32_e32 v1, v32, v1
	v_min_f32_e32 v1, 0x43e00000, v1
	v_max_f32_e32 v1, 0xc3e00000, v1
	v_mov_b32_e32 v25, 0
	s_movk_i32 s0, 0x80
	v_and_b32_sdwa v2, v1, s0 dst_sel:DWORD dst_unused:UNUSED_PAD src0_sel:BYTE_3 src1_sel:DWORD
	v_and_b32_e32 v26, 0x7f800000, v1
	v_mov_b32_e32 v27, v25
	s_mov_b64 s[0:1], 0x7f800000
	v_and_b32_e32 v24, 0x7fffff, v1
	v_or_b32_e32 v22, 0x7e, v2
	v_cmp_ne_u64_e32 vcc, s[0:1], v[26:27]
	s_and_saveexec_b64 s[0:1], vcc
	s_xor_b64 s[4:5], exec, s[0:1]
	s_cbranch_execz .LBB6_398
; %bb.385:
	v_and_b32_e32 v26, 0x7fffffff, v1
	v_mov_b32_e32 v27, v25
	s_mov_b64 s[0:1], 0x43e00001
	v_cmp_gt_u64_e32 vcc, s[0:1], v[26:27]
	s_and_saveexec_b64 s[0:1], vcc
	s_xor_b64 s[6:7], exec, s[0:1]
	s_cbranch_execz .LBB6_397
; %bb.386:
	v_cmp_ne_u32_e32 vcc, 0, v1
	v_pk_mov_b32 v[22:23], 0, 0
	s_and_saveexec_b64 s[8:9], vcc
	s_cbranch_execz .LBB6_396
; %bb.387:
	v_bfe_u32 v1, v1, 23, 8
	s_movk_i32 s0, 0x79
	v_sub_u32_e64 v3, s0, v1 clamp
	v_mov_b32_e32 v13, 0x78
	v_cmp_eq_u32_e32 vcc, 0, v1
	v_add_u32_e32 v7, 0xffffff88, v1
	v_cndmask_b32_e32 v1, v3, v13, vcc
	v_add_u32_e32 v3, 20, v1
	v_lshlrev_b64 v[22:23], v3, -1
	v_or_b32_e32 v5, 0x800000, v24
	v_not_b32_e32 v3, v23
	v_cndmask_b32_e32 v24, v5, v24, vcc
	v_not_b32_e32 v5, v22
	v_and_b32_e32 v23, 0, v3
	v_add_u32_e32 v3, 19, v1
	v_and_b32_e32 v22, v24, v5
	v_lshlrev_b64 v[26:27], v3, 1
	v_cmp_eq_u64_e64 s[0:1], v[22:23], v[26:27]
	v_lshrrev_b64 v[22:23], v1, v[24:25]
	v_mov_b32_e32 v3, 0xffffff89
	v_and_b32_e32 v24, 0x100000, v22
	v_mov_b32_e32 v25, 0
	v_cndmask_b32_e32 v3, v7, v3, vcc
	v_cmp_eq_u64_e32 vcc, 0, v[24:25]
	v_lshrrev_b32_e32 v5, 23, v22
	s_and_b64 vcc, vcc, s[0:1]
	v_add3_u32 v3, v3, v1, v5
	v_subbrev_co_u32_e32 v1, vcc, 0, v22, vcc
	v_and_b32_e32 v1, 0xfffff, v1
	v_add_co_u32_e32 v22, vcc, v1, v22
	v_add_u32_e32 v5, -1, v3
	v_addc_co_u32_e32 v23, vcc, 0, v23, vcc
	v_cmp_ne_u32_e32 vcc, 0, v5
                                        ; implicit-def: $vgpr1
	s_and_saveexec_b64 s[0:1], vcc
	s_xor_b64 s[0:1], exec, s[0:1]
; %bb.388:
	v_and_b32_e32 v24, 0x1000000, v22
	v_cmp_eq_u64_e32 vcc, 0, v[24:25]
	v_cndmask_b32_e32 v1, v3, v5, vcc
	v_bfe_u32 v3, v22, 24, 1
	v_lshrrev_b64 v[22:23], v3, v[22:23]
; %bb.389:
	s_andn2_saveexec_b64 s[0:1], s[0:1]
; %bb.390:
	v_bfe_u32 v1, v22, 23, 1
; %bb.391:
	s_or_b64 exec, exec, s[0:1]
	v_lshrrev_b64 v[22:23], 20, v[22:23]
	v_cmp_gt_i32_e32 vcc, 16, v1
	v_cndmask_b32_e32 v25, 0, v23, vcc
	v_cndmask_b32_e32 v24, 7, v22, vcc
	v_cmp_ne_u32_e32 vcc, 0, v1
	v_cmp_ne_u64_e64 s[0:1], 0, v[24:25]
	s_or_b64 s[0:1], vcc, s[0:1]
                                        ; implicit-def: $vgpr22_vgpr23
	s_and_saveexec_b64 s[12:13], s[0:1]
	s_xor_b64 s[0:1], exec, s[12:13]
; %bb.392:
	v_min_i32_e32 v1, 15, v1
	v_lshl_or_b32 v1, v1, 3, v2
	v_and_or_b32 v22, v24, 7, v1
                                        ; implicit-def: $vgpr2
; %bb.393:
	s_andn2_saveexec_b64 s[0:1], s[0:1]
; %bb.394:
	v_pk_mov_b32 v[22:23], v[2:3], v[2:3] op_sel:[0,1]
; %bb.395:
	s_or_b64 exec, exec, s[0:1]
.LBB6_396:
	s_or_b64 exec, exec, s[8:9]
.LBB6_397:
	s_andn2_saveexec_b64 s[0:1], s[6:7]
	s_or_b64 exec, exec, s[0:1]
                                        ; implicit-def: $vgpr1
                                        ; implicit-def: $vgpr24_vgpr25
.LBB6_398:
	s_andn2_saveexec_b64 s[0:1], s[4:5]
; %bb.399:
	s_movk_i32 s4, 0x7f
	v_or_b32_sdwa v1, v1, s4 dst_sel:DWORD dst_unused:UNUSED_PAD src0_sel:BYTE_3 src1_sel:DWORD
	v_cmp_eq_u64_e32 vcc, 0, v[24:25]
	v_cndmask_b32_e32 v22, v1, v22, vcc
; %bb.400:
	s_or_b64 exec, exec, s[0:1]
	v_lshlrev_b32_e32 v5, 16, v20
	v_lshlrev_b32_e32 v1, 24, v22
	v_and_b32_e32 v5, 0xff0000, v5
	v_or_b32_e32 v1, v1, v5
	v_lshlrev_b32_e32 v5, 8, v18
	v_and_b32_e32 v5, 0xff00, v5
	v_and_b32_e32 v7, 0xff, v16
	v_or3_b32 v1, v1, v5, v7
	v_lshlrev_b32_e32 v5, 16, v14
	s_mov_b32 s1, 0x4020c0c
	v_lshlrev_b64 v[2:3], 3, v[8:9]
	s_mov_b32 s0, 0xff00
	v_lshlrev_b32_e32 v6, 8, v6
	v_perm_b32 v0, v0, v5, s1
	v_add_co_u32_e32 v2, vcc, v30, v2
	v_and_or_b32 v0, v6, s0, v0
	v_addc_co_u32_e32 v3, vcc, v31, v3, vcc
	v_or_b32_sdwa v0, v0, v4 dst_sel:DWORD dst_unused:UNUSED_PAD src0_sel:DWORD src1_sel:BYTE_0
	global_store_dwordx2 v[2:3], v[0:1], off
.LBB6_401:
	s_or_b64 exec, exec, s[2:3]
	s_cmp_lg_u64 s[10:11], 0
	s_cselect_b64 s[0:1], -1, 0
	v_cmp_eq_u32_e32 vcc, 0, v8
	s_and_b64 s[0:1], s[0:1], vcc
	s_and_saveexec_b64 s[2:3], s[0:1]
	s_cbranch_execz .LBB6_403
; %bb.402:
	v_mov_b32_e32 v1, s11
	v_add_co_u32_e32 v0, vcc, s10, v10
	v_addc_co_u32_e32 v1, vcc, v1, v11, vcc
	global_store_dword v[0:1], v12, off
.LBB6_403:
	s_endpgm
	.section	.rodata,"a",@progbits
	.p2align	6, 0x0
	.amdhsa_kernel _ZN4vllm24merge_attn_states_kernelI14__hip_bfloat16N3c1013Float8_e4m3fnELj128ELb1EEEvPT0_PfPKT_PKfS9_SB_jjjjjjSB_
		.amdhsa_group_segment_fixed_size 0
		.amdhsa_private_segment_fixed_size 0
		.amdhsa_kernarg_size 80
		.amdhsa_user_sgpr_count 6
		.amdhsa_user_sgpr_private_segment_buffer 1
		.amdhsa_user_sgpr_dispatch_ptr 0
		.amdhsa_user_sgpr_queue_ptr 0
		.amdhsa_user_sgpr_kernarg_segment_ptr 1
		.amdhsa_user_sgpr_dispatch_id 0
		.amdhsa_user_sgpr_flat_scratch_init 0
		.amdhsa_user_sgpr_kernarg_preload_length 0
		.amdhsa_user_sgpr_kernarg_preload_offset 0
		.amdhsa_user_sgpr_private_segment_size 0
		.amdhsa_uses_dynamic_stack 0
		.amdhsa_system_sgpr_private_segment_wavefront_offset 0
		.amdhsa_system_sgpr_workgroup_id_x 1
		.amdhsa_system_sgpr_workgroup_id_y 0
		.amdhsa_system_sgpr_workgroup_id_z 0
		.amdhsa_system_sgpr_workgroup_info 0
		.amdhsa_system_vgpr_workitem_id 0
		.amdhsa_next_free_vgpr 36
		.amdhsa_next_free_sgpr 26
		.amdhsa_accum_offset 36
		.amdhsa_reserve_vcc 1
		.amdhsa_reserve_flat_scratch 0
		.amdhsa_float_round_mode_32 0
		.amdhsa_float_round_mode_16_64 0
		.amdhsa_float_denorm_mode_32 3
		.amdhsa_float_denorm_mode_16_64 3
		.amdhsa_dx10_clamp 1
		.amdhsa_ieee_mode 1
		.amdhsa_fp16_overflow 0
		.amdhsa_tg_split 0
		.amdhsa_exception_fp_ieee_invalid_op 0
		.amdhsa_exception_fp_denorm_src 0
		.amdhsa_exception_fp_ieee_div_zero 0
		.amdhsa_exception_fp_ieee_overflow 0
		.amdhsa_exception_fp_ieee_underflow 0
		.amdhsa_exception_fp_ieee_inexact 0
		.amdhsa_exception_int_div_zero 0
	.end_amdhsa_kernel
	.section	.text._ZN4vllm24merge_attn_states_kernelI14__hip_bfloat16N3c1013Float8_e4m3fnELj128ELb1EEEvPT0_PfPKT_PKfS9_SB_jjjjjjSB_,"axG",@progbits,_ZN4vllm24merge_attn_states_kernelI14__hip_bfloat16N3c1013Float8_e4m3fnELj128ELb1EEEvPT0_PfPKT_PKfS9_SB_jjjjjjSB_,comdat
.Lfunc_end6:
	.size	_ZN4vllm24merge_attn_states_kernelI14__hip_bfloat16N3c1013Float8_e4m3fnELj128ELb1EEEvPT0_PfPKT_PKfS9_SB_jjjjjjSB_, .Lfunc_end6-_ZN4vllm24merge_attn_states_kernelI14__hip_bfloat16N3c1013Float8_e4m3fnELj128ELb1EEEvPT0_PfPKT_PKfS9_SB_jjjjjjSB_
                                        ; -- End function
	.section	.AMDGPU.csdata,"",@progbits
; Kernel info:
; codeLenInByte = 14136
; NumSgprs: 30
; NumVgprs: 36
; NumAgprs: 0
; TotalNumVgprs: 36
; ScratchSize: 0
; MemoryBound: 0
; FloatMode: 240
; IeeeMode: 1
; LDSByteSize: 0 bytes/workgroup (compile time only)
; SGPRBlocks: 3
; VGPRBlocks: 4
; NumSGPRsForWavesPerEU: 30
; NumVGPRsForWavesPerEU: 36
; AccumOffset: 36
; Occupancy: 8
; WaveLimiterHint : 0
; COMPUTE_PGM_RSRC2:SCRATCH_EN: 0
; COMPUTE_PGM_RSRC2:USER_SGPR: 6
; COMPUTE_PGM_RSRC2:TRAP_HANDLER: 0
; COMPUTE_PGM_RSRC2:TGID_X_EN: 1
; COMPUTE_PGM_RSRC2:TGID_Y_EN: 0
; COMPUTE_PGM_RSRC2:TGID_Z_EN: 0
; COMPUTE_PGM_RSRC2:TIDIG_COMP_CNT: 0
; COMPUTE_PGM_RSRC3_GFX90A:ACCUM_OFFSET: 8
; COMPUTE_PGM_RSRC3_GFX90A:TG_SPLIT: 0
	.section	.text._ZN4vllm24merge_attn_states_kernelI14__hip_bfloat16N3c1015Float8_e4m3fnuzELj128ELb1EEEvPT0_PfPKT_PKfS9_SB_jjjjjjSB_,"axG",@progbits,_ZN4vllm24merge_attn_states_kernelI14__hip_bfloat16N3c1015Float8_e4m3fnuzELj128ELb1EEEvPT0_PfPKT_PKfS9_SB_jjjjjjSB_,comdat
	.protected	_ZN4vllm24merge_attn_states_kernelI14__hip_bfloat16N3c1015Float8_e4m3fnuzELj128ELb1EEEvPT0_PfPKT_PKfS9_SB_jjjjjjSB_ ; -- Begin function _ZN4vllm24merge_attn_states_kernelI14__hip_bfloat16N3c1015Float8_e4m3fnuzELj128ELb1EEEvPT0_PfPKT_PKfS9_SB_jjjjjjSB_
	.globl	_ZN4vllm24merge_attn_states_kernelI14__hip_bfloat16N3c1015Float8_e4m3fnuzELj128ELb1EEEvPT0_PfPKT_PKfS9_SB_jjjjjjSB_
	.p2align	8
	.type	_ZN4vllm24merge_attn_states_kernelI14__hip_bfloat16N3c1015Float8_e4m3fnuzELj128ELb1EEEvPT0_PfPKT_PKfS9_SB_jjjjjjSB_,@function
_ZN4vllm24merge_attn_states_kernelI14__hip_bfloat16N3c1015Float8_e4m3fnuzELj128ELb1EEEvPT0_PfPKT_PKfS9_SB_jjjjjjSB_: ; @_ZN4vllm24merge_attn_states_kernelI14__hip_bfloat16N3c1015Float8_e4m3fnuzELj128ELb1EEEvPT0_PfPKT_PKfS9_SB_jjjjjjSB_
; %bb.0:
	s_load_dwordx4 s[16:19], s[4:5], 0x30
	v_lshl_add_u32 v0, s6, 7, v0
	s_waitcnt lgkmcnt(0)
	s_lshr_b32 s6, s18, 3
	s_mul_i32 s0, s17, s16
	s_mul_i32 s0, s0, s6
	v_cmp_gt_u32_e32 vcc, s0, v0
	s_and_saveexec_b64 s[0:1], vcc
	s_cbranch_execz .LBB7_259
; %bb.1:
	v_cvt_f32_u32_e32 v1, s6
	s_load_dwordx8 s[8:15], s[4:5], 0x0
	v_cvt_f32_u32_e32 v2, s17
	s_load_dwordx4 s[20:23], s[4:5], 0x40
	s_load_dwordx4 s[0:3], s[4:5], 0x20
	v_rcp_iflag_f32_e32 v1, v1
	s_sub_i32 s4, 0, s6
	v_rcp_iflag_f32_e32 v2, v2
	s_waitcnt lgkmcnt(0)
	v_mov_b32_e32 v9, s9
	v_mul_f32_e32 v1, 0x4f7ffffe, v1
	v_cvt_u32_f32_e32 v1, v1
	v_mul_f32_e32 v2, 0x4f7ffffe, v2
	v_cvt_u32_f32_e32 v2, v2
	v_mul_lo_u32 v3, s4, v1
	v_mul_hi_u32 v3, v1, v3
	v_add_u32_e32 v1, v1, v3
	v_mul_hi_u32 v1, v0, v1
	v_mul_lo_u32 v3, v1, s6
	v_sub_u32_e32 v3, v0, v3
	v_add_u32_e32 v4, 1, v1
	v_cmp_le_u32_e32 vcc, s6, v3
	v_cndmask_b32_e32 v1, v1, v4, vcc
	v_subrev_u32_e32 v4, s6, v3
	v_cndmask_b32_e32 v3, v3, v4, vcc
	v_add_u32_e32 v4, 1, v1
	v_cmp_le_u32_e32 vcc, s6, v3
	v_cndmask_b32_e32 v1, v1, v4, vcc
	v_mul_lo_u32 v3, v1, s6
	s_sub_i32 s4, 0, s17
	v_sub_u32_e32 v8, v0, v3
	v_mul_lo_u32 v0, s4, v2
	v_mul_hi_u32 v0, v2, v0
	v_add_u32_e32 v0, v2, v0
	v_mul_hi_u32 v0, v1, v0
	v_mul_lo_u32 v2, v0, s17
	v_sub_u32_e32 v2, v1, v2
	v_add_u32_e32 v3, 1, v0
	v_cmp_le_u32_e32 vcc, s17, v2
	v_cndmask_b32_e32 v0, v0, v3, vcc
	v_subrev_u32_e32 v3, s17, v2
	v_cndmask_b32_e32 v2, v2, v3, vcc
	v_add_u32_e32 v3, 1, v0
	v_cmp_le_u32_e32 vcc, s17, v2
	s_load_dword s4, s[22:23], 0x0
	v_cndmask_b32_e32 v4, v0, v3, vcc
	v_mul_lo_u32 v0, v4, s17
	v_sub_u32_e32 v5, v1, v0
	v_mul_lo_u32 v0, v1, s19
	v_mul_lo_u32 v7, v1, s20
	v_mov_b32_e32 v1, 0
	v_lshlrev_b64 v[0:1], 1, v[0:1]
	v_mov_b32_e32 v3, s1
	v_add_co_u32_e32 v2, vcc, s0, v0
	s_waitcnt lgkmcnt(0)
	v_div_scale_f32 v10, s[0:1], s4, s4, 1.0
	v_rcp_f32_e32 v11, v10
	v_addc_co_u32_e32 v3, vcc, v3, v1, vcc
	v_add_co_u32_e32 v30, vcc, s8, v7
	v_addc_co_u32_e32 v31, vcc, 0, v9, vcc
	v_fma_f32 v7, -v10, v11, 1.0
	v_fmac_f32_e32 v11, v7, v11
	v_div_scale_f32 v7, vcc, 1.0, s4, 1.0
	v_mul_f32_e32 v9, v7, v11
	v_fma_f32 v12, -v10, v9, v7
	v_fmac_f32_e32 v9, v12, v11
	v_fma_f32 v7, -v10, v9, v7
	v_div_fmas_f32 v7, v7, v11, v9
	v_lshlrev_b32_e32 v6, 3, v8
	v_div_fixup_f32 v32, v7, s4, 1.0
	v_cmp_le_u32_e32 vcc, s21, v4
	s_and_saveexec_b64 s[0:1], vcc
	s_xor_b64 s[4:5], exec, s[0:1]
	s_cbranch_execz .LBB7_87
; %bb.2:
	v_cmp_gt_u32_e32 vcc, s18, v6
	s_and_saveexec_b64 s[6:7], vcc
	s_cbranch_execz .LBB7_84
; %bb.3:
	v_mov_b32_e32 v9, 0
	v_lshlrev_b64 v[0:1], 4, v[8:9]
	v_add_co_u32_e32 v0, vcc, v2, v0
	v_addc_co_u32_e32 v1, vcc, v3, v1, vcc
	global_load_dwordx4 v[0:3], v[0:1], off
	s_movk_i32 s0, 0x7f
	v_mov_b32_e32 v11, v9
	s_waitcnt vmcnt(0)
	v_lshlrev_b32_e32 v6, 16, v0
	v_mul_f32_e32 v6, v32, v6
	v_min_f32_e32 v6, 0x43600000, v6
	v_max_f32_e32 v12, 0xc3600000, v6
	v_or_b32_sdwa v6, v12, s0 dst_sel:DWORD dst_unused:UNUSED_PAD src0_sel:BYTE_3 src1_sel:DWORD
	v_and_b32_e32 v10, 0x7f800000, v12
	s_mov_b64 s[0:1], 0x7f800000
	v_cmp_ne_u64_e32 vcc, s[0:1], v[10:11]
	s_and_saveexec_b64 s[0:1], vcc
	s_xor_b64 s[8:9], exec, s[0:1]
	s_cbranch_execz .LBB7_13
; %bb.4:
	v_and_b32_e32 v10, 0x7fffffff, v12
	v_mov_b32_e32 v11, v9
	s_mov_b64 s[0:1], 0x43700001
	v_cmp_gt_u64_e32 vcc, s[0:1], v[10:11]
	s_and_saveexec_b64 s[0:1], vcc
	s_xor_b64 s[20:21], exec, s[0:1]
	s_cbranch_execz .LBB7_12
; %bb.5:
	v_cmp_ne_u32_e32 vcc, 0, v12
	v_pk_mov_b32 v[6:7], 0, 0
	s_and_saveexec_b64 s[22:23], vcc
	s_cbranch_execz .LBB7_11
; %bb.6:
	v_bfe_u32 v7, v12, 23, 8
	s_movk_i32 s0, 0x78
	v_and_b32_e32 v6, 0x7fffff, v12
	v_sub_u32_e64 v10, s0, v7 clamp
	v_mov_b32_e32 v14, 0x77
	v_cmp_eq_u32_e32 vcc, 0, v7
	v_or_b32_e32 v11, 0x800000, v6
	v_cndmask_b32_e32 v16, v10, v14, vcc
	v_cndmask_b32_e32 v10, v11, v6, vcc
	v_add_u32_e32 v6, 20, v16
	v_add_u32_e32 v13, 0xffffff89, v7
	v_lshlrev_b64 v[6:7], v6, -1
	v_mov_b32_e32 v11, 0
	v_not_b32_e32 v6, v6
	v_add_u32_e32 v14, 19, v16
	v_and_b32_e32 v6, v10, v6
	v_mov_b32_e32 v7, v11
	v_lshlrev_b64 v[14:15], v14, 1
	v_cmp_eq_u64_e64 s[0:1], v[6:7], v[14:15]
	v_lshrrev_b64 v[6:7], v16, v[10:11]
	v_mov_b32_e32 v10, 0xffffff8a
	v_cndmask_b32_e32 v10, v13, v10, vcc
	v_lshrrev_b32_e32 v13, 23, v6
	v_add3_u32 v13, v10, v16, v13
	v_and_b32_e32 v10, 0x100000, v6
	v_cmp_eq_u64_e32 vcc, 0, v[10:11]
	s_and_b64 vcc, vcc, s[0:1]
	v_subbrev_co_u32_e32 v10, vcc, 0, v6, vcc
	v_and_b32_e32 v10, 0xfffff, v10
	v_add_co_u32_e32 v6, vcc, v10, v6
	v_add_u32_e32 v14, -1, v13
	v_addc_co_u32_e32 v7, vcc, 0, v7, vcc
	v_cmp_ne_u32_e32 vcc, 0, v14
                                        ; implicit-def: $vgpr10
	s_and_saveexec_b64 s[0:1], vcc
	s_xor_b64 s[0:1], exec, s[0:1]
; %bb.7:
	v_and_b32_e32 v10, 0x1000000, v6
	v_cmp_eq_u64_e32 vcc, 0, v[10:11]
	v_bfe_u32 v11, v6, 24, 1
	v_cndmask_b32_e32 v10, v13, v14, vcc
	v_lshrrev_b64 v[6:7], v11, v[6:7]
; %bb.8:
	s_andn2_saveexec_b64 s[0:1], s[0:1]
; %bb.9:
	v_bfe_u32 v10, v6, 23, 1
; %bb.10:
	s_or_b64 exec, exec, s[0:1]
	s_movk_i32 s0, 0x80
	v_lshrrev_b64 v[6:7], 20, v[6:7]
	v_cmp_gt_i32_e32 vcc, 16, v10
	v_and_b32_sdwa v11, v12, s0 dst_sel:DWORD dst_unused:UNUSED_PAD src0_sel:BYTE_3 src1_sel:DWORD
	v_min_i32_e32 v12, 15, v10
	v_cndmask_b32_e32 v7, 0, v7, vcc
	v_cndmask_b32_e32 v6, 7, v6, vcc
	v_cmp_eq_u32_e32 vcc, 0, v10
	v_cmp_eq_u64_e64 s[0:1], 0, v[6:7]
	v_lshl_or_b32 v7, v12, 3, v11
	v_and_or_b32 v6, v6, 7, v7
	s_and_b64 s[0:1], vcc, s[0:1]
	v_cndmask_b32_e64 v6, v6, 0, s[0:1]
.LBB7_11:
	s_or_b64 exec, exec, s[22:23]
.LBB7_12:
	s_andn2_saveexec_b64 s[0:1], s[20:21]
	s_or_b64 exec, exec, s[0:1]
.LBB7_13:
	s_andn2_saveexec_b64 s[0:1], s[8:9]
	s_or_b64 exec, exec, s[0:1]
	v_and_b32_e32 v0, 0xffff0000, v0
	v_mul_f32_e32 v0, v32, v0
	v_min_f32_e32 v0, 0x43600000, v0
	v_max_f32_e32 v0, 0xc3600000, v0
	s_movk_i32 s0, 0x7f
	v_mov_b32_e32 v13, 0
	v_or_b32_sdwa v10, v0, s0 dst_sel:DWORD dst_unused:UNUSED_PAD src0_sel:BYTE_3 src1_sel:DWORD
	v_and_b32_e32 v12, 0x7f800000, v0
	s_mov_b64 s[0:1], 0x7f800000
	v_cmp_ne_u64_e32 vcc, s[0:1], v[12:13]
	s_and_saveexec_b64 s[0:1], vcc
	s_xor_b64 s[8:9], exec, s[0:1]
	s_cbranch_execz .LBB7_23
; %bb.14:
	v_and_b32_e32 v12, 0x7fffffff, v0
	s_mov_b64 s[0:1], 0x43700001
	v_cmp_gt_u64_e32 vcc, s[0:1], v[12:13]
	s_and_saveexec_b64 s[0:1], vcc
	s_xor_b64 s[20:21], exec, s[0:1]
	s_cbranch_execz .LBB7_22
; %bb.15:
	v_cmp_ne_u32_e32 vcc, 0, v0
	v_pk_mov_b32 v[10:11], 0, 0
	s_and_saveexec_b64 s[22:23], vcc
	s_cbranch_execz .LBB7_21
; %bb.16:
	v_bfe_u32 v10, v0, 23, 8
	s_movk_i32 s0, 0x78
	v_and_b32_e32 v7, 0x7fffff, v0
	v_sub_u32_e64 v11, s0, v10 clamp
	v_mov_b32_e32 v13, 0x77
	v_cmp_eq_u32_e32 vcc, 0, v10
	v_or_b32_e32 v12, 0x800000, v7
	v_cndmask_b32_e32 v17, v11, v13, vcc
	v_cndmask_b32_e32 v12, v12, v7, vcc
	v_add_u32_e32 v7, 20, v17
	v_add_u32_e32 v16, 0xffffff89, v10
	v_lshlrev_b64 v[10:11], v7, -1
	v_not_b32_e32 v7, v10
	v_mov_b32_e32 v13, 0
	v_and_b32_e32 v10, v12, v7
	v_add_u32_e32 v7, 19, v17
	v_mov_b32_e32 v11, v13
	v_lshlrev_b64 v[14:15], v7, 1
	v_cmp_eq_u64_e64 s[0:1], v[10:11], v[14:15]
	v_lshrrev_b64 v[10:11], v17, v[12:13]
	v_mov_b32_e32 v7, 0xffffff8a
	v_cndmask_b32_e32 v7, v16, v7, vcc
	v_lshrrev_b32_e32 v12, 23, v10
	v_add3_u32 v14, v7, v17, v12
	v_and_b32_e32 v12, 0x100000, v10
	v_cmp_eq_u64_e32 vcc, 0, v[12:13]
	s_and_b64 vcc, vcc, s[0:1]
	v_subbrev_co_u32_e32 v7, vcc, 0, v10, vcc
	v_and_b32_e32 v7, 0xfffff, v7
	v_add_co_u32_e32 v10, vcc, v7, v10
	v_add_u32_e32 v15, -1, v14
	v_addc_co_u32_e32 v11, vcc, 0, v11, vcc
	v_cmp_ne_u32_e32 vcc, 0, v15
                                        ; implicit-def: $vgpr7
	s_and_saveexec_b64 s[0:1], vcc
	s_xor_b64 s[0:1], exec, s[0:1]
; %bb.17:
	v_and_b32_e32 v12, 0x1000000, v10
	v_cmp_eq_u64_e32 vcc, 0, v[12:13]
	v_bfe_u32 v12, v10, 24, 1
	v_cndmask_b32_e32 v7, v14, v15, vcc
	v_lshrrev_b64 v[10:11], v12, v[10:11]
; %bb.18:
	s_andn2_saveexec_b64 s[0:1], s[0:1]
; %bb.19:
	v_bfe_u32 v7, v10, 23, 1
; %bb.20:
	s_or_b64 exec, exec, s[0:1]
	s_movk_i32 s0, 0x80
	v_lshrrev_b64 v[10:11], 20, v[10:11]
	v_cmp_gt_i32_e32 vcc, 16, v7
	v_and_b32_sdwa v0, v0, s0 dst_sel:DWORD dst_unused:UNUSED_PAD src0_sel:BYTE_3 src1_sel:DWORD
	v_min_i32_e32 v12, 15, v7
	v_cndmask_b32_e32 v11, 0, v11, vcc
	v_cndmask_b32_e32 v10, 7, v10, vcc
	v_cmp_eq_u32_e32 vcc, 0, v7
	v_cmp_eq_u64_e64 s[0:1], 0, v[10:11]
	v_lshl_or_b32 v0, v12, 3, v0
	v_and_or_b32 v0, v10, 7, v0
	s_and_b64 s[0:1], vcc, s[0:1]
	v_cndmask_b32_e64 v10, v0, 0, s[0:1]
.LBB7_21:
	s_or_b64 exec, exec, s[22:23]
.LBB7_22:
	s_andn2_saveexec_b64 s[0:1], s[20:21]
	s_or_b64 exec, exec, s[0:1]
.LBB7_23:
	s_andn2_saveexec_b64 s[0:1], s[8:9]
	s_or_b64 exec, exec, s[0:1]
	v_lshlrev_b32_e32 v0, 16, v1
	v_mul_f32_e32 v0, v32, v0
	v_min_f32_e32 v0, 0x43600000, v0
	v_max_f32_e32 v0, 0xc3600000, v0
	s_movk_i32 s0, 0x7f
	v_mov_b32_e32 v15, 0
	v_or_b32_sdwa v12, v0, s0 dst_sel:DWORD dst_unused:UNUSED_PAD src0_sel:BYTE_3 src1_sel:DWORD
	v_and_b32_e32 v14, 0x7f800000, v0
	s_mov_b64 s[0:1], 0x7f800000
	v_cmp_ne_u64_e32 vcc, s[0:1], v[14:15]
	s_and_saveexec_b64 s[0:1], vcc
	s_xor_b64 s[8:9], exec, s[0:1]
	s_cbranch_execz .LBB7_33
; %bb.24:
	v_and_b32_e32 v14, 0x7fffffff, v0
	s_mov_b64 s[0:1], 0x43700001
	v_cmp_gt_u64_e32 vcc, s[0:1], v[14:15]
	s_and_saveexec_b64 s[0:1], vcc
	s_xor_b64 s[20:21], exec, s[0:1]
	s_cbranch_execz .LBB7_32
; %bb.25:
	v_cmp_ne_u32_e32 vcc, 0, v0
	v_pk_mov_b32 v[12:13], 0, 0
	s_and_saveexec_b64 s[22:23], vcc
	s_cbranch_execz .LBB7_31
; %bb.26:
	v_bfe_u32 v11, v0, 23, 8
	s_movk_i32 s0, 0x78
	v_and_b32_e32 v7, 0x7fffff, v0
	v_sub_u32_e64 v12, s0, v11 clamp
	v_mov_b32_e32 v14, 0x77
	v_cmp_eq_u32_e32 vcc, 0, v11
	v_or_b32_e32 v13, 0x800000, v7
	v_add_u32_e32 v18, 0xffffff89, v11
	v_cndmask_b32_e32 v11, v12, v14, vcc
	v_cndmask_b32_e32 v14, v13, v7, vcc
	v_add_u32_e32 v7, 20, v11
	v_lshlrev_b64 v[12:13], v7, -1
	v_not_b32_e32 v7, v12
	v_mov_b32_e32 v15, 0
	v_and_b32_e32 v12, v14, v7
	v_add_u32_e32 v7, 19, v11
	v_mov_b32_e32 v13, v15
	v_lshlrev_b64 v[16:17], v7, 1
	v_cmp_eq_u64_e64 s[0:1], v[12:13], v[16:17]
	v_lshrrev_b64 v[12:13], v11, v[14:15]
	v_mov_b32_e32 v7, 0xffffff8a
	v_cndmask_b32_e32 v7, v18, v7, vcc
	v_lshrrev_b32_e32 v14, 23, v12
	v_add3_u32 v11, v7, v11, v14
	v_and_b32_e32 v14, 0x100000, v12
	v_cmp_eq_u64_e32 vcc, 0, v[14:15]
	s_and_b64 vcc, vcc, s[0:1]
	v_subbrev_co_u32_e32 v7, vcc, 0, v12, vcc
	v_and_b32_e32 v7, 0xfffff, v7
	v_add_co_u32_e32 v12, vcc, v7, v12
	v_add_u32_e32 v16, -1, v11
	v_addc_co_u32_e32 v13, vcc, 0, v13, vcc
	v_cmp_ne_u32_e32 vcc, 0, v16
                                        ; implicit-def: $vgpr7
	s_and_saveexec_b64 s[0:1], vcc
	s_xor_b64 s[0:1], exec, s[0:1]
; %bb.27:
	v_and_b32_e32 v14, 0x1000000, v12
	v_cmp_eq_u64_e32 vcc, 0, v[14:15]
	v_cndmask_b32_e32 v7, v11, v16, vcc
	v_bfe_u32 v11, v12, 24, 1
	v_lshrrev_b64 v[12:13], v11, v[12:13]
; %bb.28:
	s_andn2_saveexec_b64 s[0:1], s[0:1]
; %bb.29:
	v_bfe_u32 v7, v12, 23, 1
; %bb.30:
	s_or_b64 exec, exec, s[0:1]
	s_movk_i32 s0, 0x80
	v_lshrrev_b64 v[12:13], 20, v[12:13]
	v_cmp_gt_i32_e32 vcc, 16, v7
	v_and_b32_sdwa v0, v0, s0 dst_sel:DWORD dst_unused:UNUSED_PAD src0_sel:BYTE_3 src1_sel:DWORD
	v_min_i32_e32 v11, 15, v7
	v_cndmask_b32_e32 v13, 0, v13, vcc
	v_cndmask_b32_e32 v12, 7, v12, vcc
	v_cmp_eq_u32_e32 vcc, 0, v7
	v_cmp_eq_u64_e64 s[0:1], 0, v[12:13]
	v_lshl_or_b32 v0, v11, 3, v0
	v_and_or_b32 v0, v12, 7, v0
	s_and_b64 s[0:1], vcc, s[0:1]
	v_cndmask_b32_e64 v12, v0, 0, s[0:1]
.LBB7_31:
	s_or_b64 exec, exec, s[22:23]
.LBB7_32:
	s_andn2_saveexec_b64 s[0:1], s[20:21]
	s_or_b64 exec, exec, s[0:1]
.LBB7_33:
	s_andn2_saveexec_b64 s[0:1], s[8:9]
	s_or_b64 exec, exec, s[0:1]
	v_and_b32_e32 v0, 0xffff0000, v1
	v_mul_f32_e32 v0, v32, v0
	v_min_f32_e32 v0, 0x43600000, v0
	v_max_f32_e32 v7, 0xc3600000, v0
	s_movk_i32 s0, 0x7f
	v_mov_b32_e32 v15, 0
	v_or_b32_sdwa v0, v7, s0 dst_sel:DWORD dst_unused:UNUSED_PAD src0_sel:BYTE_3 src1_sel:DWORD
	v_and_b32_e32 v14, 0x7f800000, v7
	s_mov_b64 s[0:1], 0x7f800000
	v_cmp_ne_u64_e32 vcc, s[0:1], v[14:15]
	s_and_saveexec_b64 s[0:1], vcc
	s_xor_b64 s[8:9], exec, s[0:1]
	s_cbranch_execz .LBB7_43
; %bb.34:
	v_and_b32_e32 v14, 0x7fffffff, v7
	s_mov_b64 s[0:1], 0x43700001
	v_cmp_gt_u64_e32 vcc, s[0:1], v[14:15]
	s_and_saveexec_b64 s[0:1], vcc
	s_xor_b64 s[20:21], exec, s[0:1]
	s_cbranch_execz .LBB7_42
; %bb.35:
	v_cmp_ne_u32_e32 vcc, 0, v7
	v_pk_mov_b32 v[0:1], 0, 0
	s_and_saveexec_b64 s[22:23], vcc
	s_cbranch_execz .LBB7_41
; %bb.36:
	v_bfe_u32 v1, v7, 23, 8
	s_movk_i32 s0, 0x78
	v_and_b32_e32 v0, 0x7fffff, v7
	v_sub_u32_e64 v11, s0, v1 clamp
	v_mov_b32_e32 v14, 0x77
	v_cmp_eq_u32_e32 vcc, 0, v1
	v_or_b32_e32 v13, 0x800000, v0
	v_cndmask_b32_e32 v11, v11, v14, vcc
	v_cndmask_b32_e32 v14, v13, v0, vcc
	v_add_u32_e32 v0, 20, v11
	v_add_u32_e32 v18, 0xffffff89, v1
	v_lshlrev_b64 v[0:1], v0, -1
	v_mov_b32_e32 v15, 0
	v_not_b32_e32 v0, v0
	v_add_u32_e32 v13, 19, v11
	v_and_b32_e32 v0, v14, v0
	v_mov_b32_e32 v1, v15
	v_lshlrev_b64 v[16:17], v13, 1
	v_cmp_eq_u64_e64 s[0:1], v[0:1], v[16:17]
	v_lshrrev_b64 v[0:1], v11, v[14:15]
	v_mov_b32_e32 v13, 0xffffff8a
	v_cndmask_b32_e32 v13, v18, v13, vcc
	v_lshrrev_b32_e32 v14, 23, v0
	v_add3_u32 v13, v13, v11, v14
	v_and_b32_e32 v14, 0x100000, v0
	v_cmp_eq_u64_e32 vcc, 0, v[14:15]
	s_and_b64 vcc, vcc, s[0:1]
	v_subbrev_co_u32_e32 v11, vcc, 0, v0, vcc
	v_and_b32_e32 v11, 0xfffff, v11
	v_add_co_u32_e32 v0, vcc, v11, v0
	v_add_u32_e32 v16, -1, v13
	v_addc_co_u32_e32 v1, vcc, 0, v1, vcc
	v_cmp_ne_u32_e32 vcc, 0, v16
                                        ; implicit-def: $vgpr11
	s_and_saveexec_b64 s[0:1], vcc
	s_xor_b64 s[0:1], exec, s[0:1]
; %bb.37:
	v_and_b32_e32 v14, 0x1000000, v0
	v_cmp_eq_u64_e32 vcc, 0, v[14:15]
	v_cndmask_b32_e32 v11, v13, v16, vcc
	v_bfe_u32 v13, v0, 24, 1
	v_lshrrev_b64 v[0:1], v13, v[0:1]
; %bb.38:
	s_andn2_saveexec_b64 s[0:1], s[0:1]
; %bb.39:
	v_bfe_u32 v11, v0, 23, 1
; %bb.40:
	s_or_b64 exec, exec, s[0:1]
	s_movk_i32 s0, 0x80
	v_lshrrev_b64 v[0:1], 20, v[0:1]
	v_cmp_gt_i32_e32 vcc, 16, v11
	v_and_b32_sdwa v7, v7, s0 dst_sel:DWORD dst_unused:UNUSED_PAD src0_sel:BYTE_3 src1_sel:DWORD
	v_min_i32_e32 v13, 15, v11
	v_cndmask_b32_e32 v1, 0, v1, vcc
	v_cndmask_b32_e32 v0, 7, v0, vcc
	v_cmp_eq_u32_e32 vcc, 0, v11
	v_cmp_eq_u64_e64 s[0:1], 0, v[0:1]
	v_lshl_or_b32 v1, v13, 3, v7
	v_and_or_b32 v0, v0, 7, v1
	s_and_b64 s[0:1], vcc, s[0:1]
	v_cndmask_b32_e64 v0, v0, 0, s[0:1]
.LBB7_41:
	s_or_b64 exec, exec, s[22:23]
.LBB7_42:
	s_andn2_saveexec_b64 s[0:1], s[20:21]
	s_or_b64 exec, exec, s[0:1]
.LBB7_43:
	s_andn2_saveexec_b64 s[0:1], s[8:9]
	s_or_b64 exec, exec, s[0:1]
	v_lshlrev_b32_e32 v1, 16, v2
	v_mul_f32_e32 v1, v32, v1
	v_min_f32_e32 v1, 0x43600000, v1
	v_max_f32_e32 v1, 0xc3600000, v1
	s_movk_i32 s0, 0x7f
	v_mov_b32_e32 v17, 0
	v_or_b32_sdwa v14, v1, s0 dst_sel:DWORD dst_unused:UNUSED_PAD src0_sel:BYTE_3 src1_sel:DWORD
	v_and_b32_e32 v16, 0x7f800000, v1
	s_mov_b64 s[0:1], 0x7f800000
	v_cmp_ne_u64_e32 vcc, s[0:1], v[16:17]
	s_and_saveexec_b64 s[0:1], vcc
	s_xor_b64 s[8:9], exec, s[0:1]
	s_cbranch_execz .LBB7_53
; %bb.44:
	v_and_b32_e32 v16, 0x7fffffff, v1
	s_mov_b64 s[0:1], 0x43700001
	v_cmp_gt_u64_e32 vcc, s[0:1], v[16:17]
	s_and_saveexec_b64 s[0:1], vcc
	s_xor_b64 s[20:21], exec, s[0:1]
	s_cbranch_execz .LBB7_52
; %bb.45:
	v_cmp_ne_u32_e32 vcc, 0, v1
	v_pk_mov_b32 v[14:15], 0, 0
	s_and_saveexec_b64 s[22:23], vcc
	s_cbranch_execz .LBB7_51
; %bb.46:
	v_bfe_u32 v11, v1, 23, 8
	s_movk_i32 s0, 0x78
	v_and_b32_e32 v7, 0x7fffff, v1
	v_sub_u32_e64 v13, s0, v11 clamp
	v_mov_b32_e32 v15, 0x77
	v_cmp_eq_u32_e32 vcc, 0, v11
	v_or_b32_e32 v14, 0x800000, v7
	v_add_u32_e32 v20, 0xffffff89, v11
	v_cndmask_b32_e32 v11, v13, v15, vcc
	v_cndmask_b32_e32 v16, v14, v7, vcc
	v_add_u32_e32 v7, 20, v11
	v_lshlrev_b64 v[14:15], v7, -1
	v_not_b32_e32 v7, v14
	v_mov_b32_e32 v17, 0
	v_and_b32_e32 v14, v16, v7
	v_add_u32_e32 v7, 19, v11
	v_mov_b32_e32 v15, v17
	v_lshlrev_b64 v[18:19], v7, 1
	v_cmp_eq_u64_e64 s[0:1], v[14:15], v[18:19]
	v_lshrrev_b64 v[14:15], v11, v[16:17]
	v_mov_b32_e32 v7, 0xffffff8a
	v_and_b32_e32 v16, 0x100000, v14
	v_cndmask_b32_e32 v7, v20, v7, vcc
	v_cmp_eq_u64_e32 vcc, 0, v[16:17]
	v_lshrrev_b32_e32 v13, 23, v14
	s_and_b64 vcc, vcc, s[0:1]
	v_add3_u32 v11, v7, v11, v13
	v_subbrev_co_u32_e32 v7, vcc, 0, v14, vcc
	v_and_b32_e32 v7, 0xfffff, v7
	v_add_co_u32_e32 v14, vcc, v7, v14
	v_add_u32_e32 v13, -1, v11
	v_addc_co_u32_e32 v15, vcc, 0, v15, vcc
	v_cmp_ne_u32_e32 vcc, 0, v13
                                        ; implicit-def: $vgpr7
	s_and_saveexec_b64 s[0:1], vcc
	s_xor_b64 s[0:1], exec, s[0:1]
; %bb.47:
	v_and_b32_e32 v16, 0x1000000, v14
	v_cmp_eq_u64_e32 vcc, 0, v[16:17]
	v_cndmask_b32_e32 v7, v11, v13, vcc
	v_bfe_u32 v11, v14, 24, 1
	v_lshrrev_b64 v[14:15], v11, v[14:15]
; %bb.48:
	s_andn2_saveexec_b64 s[0:1], s[0:1]
; %bb.49:
	v_bfe_u32 v7, v14, 23, 1
; %bb.50:
	s_or_b64 exec, exec, s[0:1]
	s_movk_i32 s0, 0x80
	v_lshrrev_b64 v[14:15], 20, v[14:15]
	v_cmp_gt_i32_e32 vcc, 16, v7
	v_and_b32_sdwa v1, v1, s0 dst_sel:DWORD dst_unused:UNUSED_PAD src0_sel:BYTE_3 src1_sel:DWORD
	v_min_i32_e32 v11, 15, v7
	v_cndmask_b32_e32 v15, 0, v15, vcc
	v_cndmask_b32_e32 v14, 7, v14, vcc
	v_cmp_eq_u32_e32 vcc, 0, v7
	v_cmp_eq_u64_e64 s[0:1], 0, v[14:15]
	v_lshl_or_b32 v1, v11, 3, v1
	v_and_or_b32 v1, v14, 7, v1
	s_and_b64 s[0:1], vcc, s[0:1]
	v_cndmask_b32_e64 v14, v1, 0, s[0:1]
.LBB7_51:
	s_or_b64 exec, exec, s[22:23]
.LBB7_52:
	s_andn2_saveexec_b64 s[0:1], s[20:21]
	s_or_b64 exec, exec, s[0:1]
.LBB7_53:
	s_andn2_saveexec_b64 s[0:1], s[8:9]
	s_or_b64 exec, exec, s[0:1]
	v_and_b32_e32 v1, 0xffff0000, v2
	v_mul_f32_e32 v1, v32, v1
	v_min_f32_e32 v1, 0x43600000, v1
	v_max_f32_e32 v1, 0xc3600000, v1
	s_movk_i32 s0, 0x7f
	v_mov_b32_e32 v19, 0
	v_or_b32_sdwa v16, v1, s0 dst_sel:DWORD dst_unused:UNUSED_PAD src0_sel:BYTE_3 src1_sel:DWORD
	v_and_b32_e32 v18, 0x7f800000, v1
	s_mov_b64 s[0:1], 0x7f800000
	v_cmp_ne_u64_e32 vcc, s[0:1], v[18:19]
	s_and_saveexec_b64 s[0:1], vcc
	s_xor_b64 s[8:9], exec, s[0:1]
	s_cbranch_execz .LBB7_63
; %bb.54:
	v_and_b32_e32 v18, 0x7fffffff, v1
	s_mov_b64 s[0:1], 0x43700001
	v_cmp_gt_u64_e32 vcc, s[0:1], v[18:19]
	s_and_saveexec_b64 s[0:1], vcc
	s_xor_b64 s[20:21], exec, s[0:1]
	s_cbranch_execz .LBB7_62
; %bb.55:
	v_cmp_ne_u32_e32 vcc, 0, v1
	v_pk_mov_b32 v[16:17], 0, 0
	s_and_saveexec_b64 s[22:23], vcc
	s_cbranch_execz .LBB7_61
; %bb.56:
	v_bfe_u32 v7, v1, 23, 8
	s_movk_i32 s0, 0x78
	v_and_b32_e32 v2, 0x7fffff, v1
	v_sub_u32_e64 v11, s0, v7 clamp
	v_mov_b32_e32 v16, 0x77
	v_cmp_eq_u32_e32 vcc, 0, v7
	v_or_b32_e32 v13, 0x800000, v2
	v_add_u32_e32 v15, 0xffffff89, v7
	v_cndmask_b32_e32 v7, v11, v16, vcc
	v_cndmask_b32_e32 v18, v13, v2, vcc
	v_add_u32_e32 v2, 20, v7
	v_lshlrev_b64 v[16:17], v2, -1
	v_not_b32_e32 v2, v16
	v_mov_b32_e32 v19, 0
	v_and_b32_e32 v16, v18, v2
	v_add_u32_e32 v2, 19, v7
	v_mov_b32_e32 v17, v19
	v_lshlrev_b64 v[20:21], v2, 1
	v_cmp_eq_u64_e64 s[0:1], v[16:17], v[20:21]
	v_lshrrev_b64 v[16:17], v7, v[18:19]
	v_mov_b32_e32 v2, 0xffffff8a
	v_and_b32_e32 v18, 0x100000, v16
	v_cndmask_b32_e32 v2, v15, v2, vcc
	v_cmp_eq_u64_e32 vcc, 0, v[18:19]
	v_lshrrev_b32_e32 v11, 23, v16
	s_and_b64 vcc, vcc, s[0:1]
	v_add3_u32 v7, v2, v7, v11
	v_subbrev_co_u32_e32 v2, vcc, 0, v16, vcc
	v_and_b32_e32 v2, 0xfffff, v2
	v_add_co_u32_e32 v16, vcc, v2, v16
	v_add_u32_e32 v11, -1, v7
	v_addc_co_u32_e32 v17, vcc, 0, v17, vcc
	v_cmp_ne_u32_e32 vcc, 0, v11
                                        ; implicit-def: $vgpr2
	s_and_saveexec_b64 s[0:1], vcc
	s_xor_b64 s[0:1], exec, s[0:1]
; %bb.57:
	v_and_b32_e32 v18, 0x1000000, v16
	v_cmp_eq_u64_e32 vcc, 0, v[18:19]
	v_cndmask_b32_e32 v2, v7, v11, vcc
	v_bfe_u32 v7, v16, 24, 1
	v_lshrrev_b64 v[16:17], v7, v[16:17]
; %bb.58:
	s_andn2_saveexec_b64 s[0:1], s[0:1]
; %bb.59:
	v_bfe_u32 v2, v16, 23, 1
; %bb.60:
	s_or_b64 exec, exec, s[0:1]
	s_movk_i32 s0, 0x80
	v_lshrrev_b64 v[16:17], 20, v[16:17]
	v_cmp_gt_i32_e32 vcc, 16, v2
	v_and_b32_sdwa v1, v1, s0 dst_sel:DWORD dst_unused:UNUSED_PAD src0_sel:BYTE_3 src1_sel:DWORD
	v_min_i32_e32 v7, 15, v2
	v_cndmask_b32_e32 v17, 0, v17, vcc
	v_cndmask_b32_e32 v16, 7, v16, vcc
	v_cmp_eq_u32_e32 vcc, 0, v2
	v_cmp_eq_u64_e64 s[0:1], 0, v[16:17]
	v_lshl_or_b32 v1, v7, 3, v1
	v_and_or_b32 v1, v16, 7, v1
	s_and_b64 s[0:1], vcc, s[0:1]
	v_cndmask_b32_e64 v16, v1, 0, s[0:1]
.LBB7_61:
	s_or_b64 exec, exec, s[22:23]
.LBB7_62:
	s_andn2_saveexec_b64 s[0:1], s[20:21]
	s_or_b64 exec, exec, s[0:1]
.LBB7_63:
	s_andn2_saveexec_b64 s[0:1], s[8:9]
	s_or_b64 exec, exec, s[0:1]
	v_lshlrev_b32_e32 v1, 16, v3
	v_mul_f32_e32 v1, v32, v1
	v_min_f32_e32 v1, 0x43600000, v1
	v_max_f32_e32 v1, 0xc3600000, v1
	s_movk_i32 s0, 0x7f
	v_mov_b32_e32 v21, 0
	v_or_b32_sdwa v18, v1, s0 dst_sel:DWORD dst_unused:UNUSED_PAD src0_sel:BYTE_3 src1_sel:DWORD
	v_and_b32_e32 v20, 0x7f800000, v1
	s_mov_b64 s[0:1], 0x7f800000
	v_cmp_ne_u64_e32 vcc, s[0:1], v[20:21]
	s_and_saveexec_b64 s[0:1], vcc
	s_xor_b64 s[8:9], exec, s[0:1]
	s_cbranch_execz .LBB7_73
; %bb.64:
	v_and_b32_e32 v20, 0x7fffffff, v1
	s_mov_b64 s[0:1], 0x43700001
	v_cmp_gt_u64_e32 vcc, s[0:1], v[20:21]
	s_and_saveexec_b64 s[0:1], vcc
	s_xor_b64 s[20:21], exec, s[0:1]
	s_cbranch_execz .LBB7_72
; %bb.65:
	v_cmp_ne_u32_e32 vcc, 0, v1
	v_pk_mov_b32 v[18:19], 0, 0
	s_and_saveexec_b64 s[22:23], vcc
	s_cbranch_execz .LBB7_71
; %bb.66:
	v_bfe_u32 v7, v1, 23, 8
	s_movk_i32 s0, 0x78
	v_and_b32_e32 v2, 0x7fffff, v1
	v_sub_u32_e64 v11, s0, v7 clamp
	v_mov_b32_e32 v17, 0x77
	v_cmp_eq_u32_e32 vcc, 0, v7
	v_or_b32_e32 v13, 0x800000, v2
	v_add_u32_e32 v15, 0xffffff89, v7
	v_cndmask_b32_e32 v7, v11, v17, vcc
	v_cndmask_b32_e32 v20, v13, v2, vcc
	v_add_u32_e32 v2, 20, v7
	v_lshlrev_b64 v[18:19], v2, -1
	v_not_b32_e32 v2, v18
	v_mov_b32_e32 v21, 0
	v_and_b32_e32 v18, v20, v2
	v_add_u32_e32 v2, 19, v7
	v_mov_b32_e32 v19, v21
	v_lshlrev_b64 v[22:23], v2, 1
	v_cmp_eq_u64_e64 s[0:1], v[18:19], v[22:23]
	v_lshrrev_b64 v[18:19], v7, v[20:21]
	v_mov_b32_e32 v2, 0xffffff8a
	v_and_b32_e32 v20, 0x100000, v18
	v_cndmask_b32_e32 v2, v15, v2, vcc
	v_cmp_eq_u64_e32 vcc, 0, v[20:21]
	v_lshrrev_b32_e32 v11, 23, v18
	s_and_b64 vcc, vcc, s[0:1]
	v_add3_u32 v7, v2, v7, v11
	v_subbrev_co_u32_e32 v2, vcc, 0, v18, vcc
	v_and_b32_e32 v2, 0xfffff, v2
	v_add_co_u32_e32 v18, vcc, v2, v18
	v_add_u32_e32 v11, -1, v7
	v_addc_co_u32_e32 v19, vcc, 0, v19, vcc
	v_cmp_ne_u32_e32 vcc, 0, v11
                                        ; implicit-def: $vgpr2
	s_and_saveexec_b64 s[0:1], vcc
	s_xor_b64 s[0:1], exec, s[0:1]
; %bb.67:
	v_and_b32_e32 v20, 0x1000000, v18
	v_cmp_eq_u64_e32 vcc, 0, v[20:21]
	v_cndmask_b32_e32 v2, v7, v11, vcc
	v_bfe_u32 v7, v18, 24, 1
	v_lshrrev_b64 v[18:19], v7, v[18:19]
; %bb.68:
	s_andn2_saveexec_b64 s[0:1], s[0:1]
; %bb.69:
	v_bfe_u32 v2, v18, 23, 1
; %bb.70:
	s_or_b64 exec, exec, s[0:1]
	s_movk_i32 s0, 0x80
	v_lshrrev_b64 v[18:19], 20, v[18:19]
	v_cmp_gt_i32_e32 vcc, 16, v2
	v_and_b32_sdwa v1, v1, s0 dst_sel:DWORD dst_unused:UNUSED_PAD src0_sel:BYTE_3 src1_sel:DWORD
	v_min_i32_e32 v7, 15, v2
	v_cndmask_b32_e32 v19, 0, v19, vcc
	v_cndmask_b32_e32 v18, 7, v18, vcc
	v_cmp_eq_u32_e32 vcc, 0, v2
	v_cmp_eq_u64_e64 s[0:1], 0, v[18:19]
	v_lshl_or_b32 v1, v7, 3, v1
	v_and_or_b32 v1, v18, 7, v1
	s_and_b64 s[0:1], vcc, s[0:1]
	v_cndmask_b32_e64 v18, v1, 0, s[0:1]
.LBB7_71:
	s_or_b64 exec, exec, s[22:23]
.LBB7_72:
	s_andn2_saveexec_b64 s[0:1], s[20:21]
	s_or_b64 exec, exec, s[0:1]
.LBB7_73:
	s_andn2_saveexec_b64 s[0:1], s[8:9]
	s_or_b64 exec, exec, s[0:1]
	v_and_b32_e32 v1, 0xffff0000, v3
	v_mul_f32_e32 v1, v32, v1
	v_min_f32_e32 v1, 0x43600000, v1
	v_max_f32_e32 v1, 0xc3600000, v1
	s_movk_i32 s0, 0x7f
	v_mov_b32_e32 v21, 0
	v_or_b32_sdwa v2, v1, s0 dst_sel:DWORD dst_unused:UNUSED_PAD src0_sel:BYTE_3 src1_sel:DWORD
	v_and_b32_e32 v20, 0x7f800000, v1
	s_mov_b64 s[0:1], 0x7f800000
	v_cmp_ne_u64_e32 vcc, s[0:1], v[20:21]
	s_and_saveexec_b64 s[0:1], vcc
	s_xor_b64 s[8:9], exec, s[0:1]
	s_cbranch_execz .LBB7_83
; %bb.74:
	v_and_b32_e32 v20, 0x7fffffff, v1
	s_mov_b64 s[0:1], 0x43700001
	v_cmp_gt_u64_e32 vcc, s[0:1], v[20:21]
	s_and_saveexec_b64 s[0:1], vcc
	s_xor_b64 s[20:21], exec, s[0:1]
	s_cbranch_execz .LBB7_82
; %bb.75:
	v_cmp_ne_u32_e32 vcc, 0, v1
	v_pk_mov_b32 v[2:3], 0, 0
	s_and_saveexec_b64 s[22:23], vcc
	s_cbranch_execz .LBB7_81
; %bb.76:
	v_bfe_u32 v3, v1, 23, 8
	s_movk_i32 s0, 0x78
	v_and_b32_e32 v2, 0x7fffff, v1
	v_sub_u32_e64 v7, s0, v3 clamp
	v_mov_b32_e32 v15, 0x77
	v_cmp_eq_u32_e32 vcc, 0, v3
	v_or_b32_e32 v11, 0x800000, v2
	v_cndmask_b32_e32 v7, v7, v15, vcc
	v_cndmask_b32_e32 v20, v11, v2, vcc
	v_add_u32_e32 v2, 20, v7
	v_add_u32_e32 v13, 0xffffff89, v3
	v_lshlrev_b64 v[2:3], v2, -1
	v_mov_b32_e32 v21, 0
	v_not_b32_e32 v2, v2
	v_add_u32_e32 v11, 19, v7
	v_and_b32_e32 v2, v20, v2
	v_mov_b32_e32 v3, v21
	v_lshlrev_b64 v[22:23], v11, 1
	v_cmp_eq_u64_e64 s[0:1], v[2:3], v[22:23]
	v_lshrrev_b64 v[2:3], v7, v[20:21]
	v_mov_b32_e32 v11, 0xffffff8a
	v_and_b32_e32 v20, 0x100000, v2
	v_cndmask_b32_e32 v11, v13, v11, vcc
	v_cmp_eq_u64_e32 vcc, 0, v[20:21]
	v_lshrrev_b32_e32 v13, 23, v2
	s_and_b64 vcc, vcc, s[0:1]
	v_add3_u32 v11, v11, v7, v13
	v_subbrev_co_u32_e32 v7, vcc, 0, v2, vcc
	v_and_b32_e32 v7, 0xfffff, v7
	v_add_co_u32_e32 v2, vcc, v7, v2
	v_add_u32_e32 v13, -1, v11
	v_addc_co_u32_e32 v3, vcc, 0, v3, vcc
	v_cmp_ne_u32_e32 vcc, 0, v13
                                        ; implicit-def: $vgpr7
	s_and_saveexec_b64 s[0:1], vcc
	s_xor_b64 s[0:1], exec, s[0:1]
; %bb.77:
	v_and_b32_e32 v20, 0x1000000, v2
	v_cmp_eq_u64_e32 vcc, 0, v[20:21]
	v_cndmask_b32_e32 v7, v11, v13, vcc
	v_bfe_u32 v11, v2, 24, 1
	v_lshrrev_b64 v[2:3], v11, v[2:3]
; %bb.78:
	s_andn2_saveexec_b64 s[0:1], s[0:1]
; %bb.79:
	v_bfe_u32 v7, v2, 23, 1
; %bb.80:
	s_or_b64 exec, exec, s[0:1]
	s_movk_i32 s0, 0x80
	v_lshrrev_b64 v[2:3], 20, v[2:3]
	v_cmp_gt_i32_e32 vcc, 16, v7
	v_and_b32_sdwa v1, v1, s0 dst_sel:DWORD dst_unused:UNUSED_PAD src0_sel:BYTE_3 src1_sel:DWORD
	v_min_i32_e32 v11, 15, v7
	v_cndmask_b32_e32 v3, 0, v3, vcc
	v_cndmask_b32_e32 v2, 7, v2, vcc
	v_cmp_eq_u32_e32 vcc, 0, v7
	v_cmp_eq_u64_e64 s[0:1], 0, v[2:3]
	v_lshl_or_b32 v1, v11, 3, v1
	v_and_or_b32 v1, v2, 7, v1
	s_and_b64 s[0:1], vcc, s[0:1]
	v_cndmask_b32_e64 v2, v1, 0, s[0:1]
.LBB7_81:
	s_or_b64 exec, exec, s[22:23]
.LBB7_82:
	s_andn2_saveexec_b64 s[0:1], s[20:21]
	s_or_b64 exec, exec, s[0:1]
.LBB7_83:
	s_andn2_saveexec_b64 s[0:1], s[8:9]
	s_or_b64 exec, exec, s[0:1]
	v_lshlrev_b32_e32 v1, 24, v2
	v_lshlrev_b32_e32 v2, 16, v18
	v_and_b32_e32 v2, 0xff0000, v2
	v_or_b32_e32 v1, v1, v2
	v_lshlrev_b32_e32 v2, 8, v16
	v_and_b32_e32 v2, 0xff00, v2
	v_and_b32_e32 v3, 0xff, v14
	v_or3_b32 v1, v1, v2, v3
	v_lshlrev_b32_e32 v2, 16, v12
	s_mov_b32 s1, 0x4020c0c
	v_lshlrev_b64 v[20:21], 3, v[8:9]
	s_mov_b32 s0, 0xff00
	v_lshlrev_b32_e32 v3, 8, v10
	v_perm_b32 v0, v0, v2, s1
	v_add_co_u32_e32 v20, vcc, v30, v20
	v_and_or_b32 v0, v3, s0, v0
	v_addc_co_u32_e32 v21, vcc, v31, v21, vcc
	v_or_b32_sdwa v0, v0, v6 dst_sel:DWORD dst_unused:UNUSED_PAD src0_sel:DWORD src1_sel:BYTE_0
	global_store_dwordx2 v[20:21], v[0:1], off
.LBB7_84:
	s_or_b64 exec, exec, s[6:7]
	s_cmp_lg_u64 s[10:11], 0
	s_cselect_b64 s[0:1], -1, 0
	v_cmp_eq_u32_e32 vcc, 0, v8
	s_and_b64 s[6:7], s[0:1], vcc
	s_and_saveexec_b64 s[0:1], s[6:7]
	s_cbranch_execz .LBB7_86
; %bb.85:
	v_mad_u64_u32 v[0:1], s[6:7], v5, s16, v[4:5]
	v_mov_b32_e32 v1, 0
	v_lshlrev_b64 v[0:1], 2, v[0:1]
	v_mov_b32_e32 v3, s3
	v_add_co_u32_e32 v2, vcc, s2, v0
	v_addc_co_u32_e32 v3, vcc, v3, v1, vcc
	global_load_dword v2, v[2:3], off
	v_mov_b32_e32 v3, s11
	v_add_co_u32_e32 v0, vcc, s10, v0
	v_addc_co_u32_e32 v1, vcc, v3, v1, vcc
	s_waitcnt vmcnt(0)
	global_store_dword v[0:1], v2, off
.LBB7_86:
	s_or_b64 exec, exec, s[0:1]
                                        ; implicit-def: $vgpr8
                                        ; implicit-def: $vgpr4
                                        ; implicit-def: $vgpr5
                                        ; implicit-def: $vgpr6
                                        ; implicit-def: $vgpr0_vgpr1
                                        ; implicit-def: $vgpr32
                                        ; implicit-def: $vgpr2
                                        ; implicit-def: $vgpr3
                                        ; implicit-def: $vgpr30
                                        ; implicit-def: $vgpr31
.LBB7_87:
	s_andn2_saveexec_b64 s[0:1], s[4:5]
	s_cbranch_execz .LBB7_259
; %bb.88:
	v_mad_u64_u32 v[4:5], s[0:1], v5, s16, v[4:5]
	v_mov_b32_e32 v5, 0
	v_lshlrev_b64 v[10:11], 2, v[4:5]
	v_mov_b32_e32 v5, s15
	v_add_co_u32_e32 v4, vcc, s14, v10
	v_addc_co_u32_e32 v5, vcc, v5, v11, vcc
	global_load_dword v7, v[4:5], off
	v_mov_b32_e32 v5, s3
	v_add_co_u32_e32 v4, vcc, s2, v10
	v_addc_co_u32_e32 v5, vcc, v5, v11, vcc
	global_load_dword v9, v[4:5], off
	v_mov_b32_e32 v5, s13
	v_add_co_u32_e32 v4, vcc, s12, v0
	v_mov_b32_e32 v12, 0x204
	v_addc_co_u32_e32 v5, vcc, v5, v1, vcc
	v_mov_b32_e32 v13, 0xff800000
	s_mov_b32 s0, 0x7f800000
	s_waitcnt vmcnt(1)
	v_cmp_class_f32_e32 vcc, v7, v12
	v_cndmask_b32_e32 v0, v7, v13, vcc
	v_max_f32_e32 v7, v0, v0
	s_waitcnt vmcnt(0)
	v_cmp_class_f32_e32 vcc, v9, v12
	v_cndmask_b32_e32 v1, v9, v13, vcc
	v_max_f32_e32 v9, v1, v1
	v_max_f32_e32 v12, v7, v9
	v_cmp_neq_f32_e64 s[0:1], |v12|, s0
	s_and_saveexec_b64 s[2:3], s[0:1]
	s_xor_b64 s[2:3], exec, s[2:3]
	s_cbranch_execz .LBB7_174
; %bb.89:
	v_pk_add_f32 v[0:1], v[0:1], v[12:13] op_sel_hi:[1,0] neg_lo:[0,1] neg_hi:[0,1]
	s_mov_b32 s0, 0x3fb8aa3b
	v_mul_f32_e32 v7, 0x3fb8aa3b, v1
	v_fma_f32 v9, v1, s0, -v7
	v_rndne_f32_e32 v13, v7
	v_fmac_f32_e32 v9, 0x32a5705f, v1
	v_sub_f32_e32 v7, v7, v13
	v_add_f32_e32 v7, v7, v9
	v_exp_f32_e32 v7, v7
	v_cvt_i32_f32_e32 v9, v13
	s_mov_b32 s1, 0xc2ce8ed0
	v_cmp_ngt_f32_e32 vcc, s1, v1
	s_mov_b32 s4, 0x42b17218
	v_ldexp_f32 v7, v7, v9
	v_mul_f32_e32 v9, 0x3fb8aa3b, v0
	v_fma_f32 v13, v0, s0, -v9
	v_rndne_f32_e32 v14, v9
	v_fmac_f32_e32 v13, 0x32a5705f, v0
	v_sub_f32_e32 v9, v9, v14
	v_add_f32_e32 v9, v9, v13
	v_exp_f32_e32 v9, v9
	v_cvt_i32_f32_e32 v13, v14
	v_cndmask_b32_e32 v7, 0, v7, vcc
	v_mov_b32_e32 v14, 0x7f800000
	v_cmp_nlt_f32_e32 vcc, s4, v1
	v_cndmask_b32_e32 v17, v14, v7, vcc
	v_ldexp_f32 v1, v9, v13
	v_cmp_ngt_f32_e32 vcc, s1, v0
	v_cndmask_b32_e32 v1, 0, v1, vcc
	v_cmp_nlt_f32_e32 vcc, s4, v0
	v_cndmask_b32_e32 v16, v14, v1, vcc
	v_mov_b32_e32 v0, v17
	v_pk_add_f32 v[14:15], v[16:17], v[0:1] op_sel_hi:[1,0]
	v_cmp_gt_u32_e32 vcc, s18, v6
	s_and_saveexec_b64 s[4:5], vcc
	s_cbranch_execz .LBB7_171
; %bb.90:
	v_mov_b32_e32 v9, 0
	v_lshlrev_b64 v[0:1], 4, v[8:9]
	v_add_co_u32_e32 v18, vcc, v4, v0
	v_addc_co_u32_e32 v19, vcc, v5, v1, vcc
	v_add_co_u32_e32 v20, vcc, v2, v0
	v_addc_co_u32_e32 v21, vcc, v3, v1, vcc
	global_load_dwordx4 v[0:3], v[20:21], off
	global_load_dwordx4 v[4:7], v[18:19], off
	v_div_scale_f32 v13, s[0:1], v14, v14, v17
	v_div_scale_f32 v18, s[0:1], v14, v14, v16
	v_rcp_f32_e32 v20, v13
	v_rcp_f32_e32 v22, v18
	v_div_scale_f32 v15, vcc, v17, v14, v17
	v_fma_f32 v23, -v13, v20, 1.0
	v_fma_f32 v24, -v18, v22, 1.0
	v_fmac_f32_e32 v20, v23, v20
	v_div_scale_f32 v19, s[0:1], v16, v14, v16
	v_fmac_f32_e32 v22, v24, v22
	v_mul_f32_e32 v23, v15, v20
	v_mul_f32_e32 v24, v19, v22
	v_fma_f32 v25, -v13, v23, v15
	v_fma_f32 v26, -v18, v24, v19
	v_fmac_f32_e32 v23, v25, v20
	v_fmac_f32_e32 v24, v26, v22
	v_fma_f32 v13, -v13, v23, v15
	v_fma_f32 v15, -v18, v24, v19
	v_div_fmas_f32 v13, v13, v20, v23
	s_mov_b64 vcc, s[0:1]
	v_div_fixup_f32 v19, v13, v14, v17
	v_div_fmas_f32 v13, v15, v22, v24
	v_div_fixup_f32 v18, v13, v14, v16
	s_movk_i32 s6, 0x7f
	v_mov_b32_e32 v21, v9
	s_mov_b64 s[0:1], 0x7f800000
	s_waitcnt vmcnt(1)
	v_lshlrev_b32_e32 v17, 16, v0
	s_waitcnt vmcnt(0)
	v_lshlrev_b32_e32 v16, 16, v4
	v_pk_mul_f32 v[16:17], v[18:19], v[16:17]
	v_add_f32_e32 v13, v16, v17
	v_mul_f32_e32 v13, v32, v13
	v_min_f32_e32 v13, 0x43600000, v13
	v_max_f32_e32 v13, 0xc3600000, v13
	v_and_b32_e32 v20, 0x7f800000, v13
	v_or_b32_sdwa v16, v13, s6 dst_sel:DWORD dst_unused:UNUSED_PAD src0_sel:BYTE_3 src1_sel:DWORD
	v_cmp_ne_u64_e32 vcc, s[0:1], v[20:21]
	s_and_saveexec_b64 s[0:1], vcc
	s_xor_b64 s[6:7], exec, s[0:1]
	s_cbranch_execz .LBB7_100
; %bb.91:
	v_and_b32_e32 v20, 0x7fffffff, v13
	v_mov_b32_e32 v21, v9
	s_mov_b64 s[0:1], 0x43700001
	v_cmp_gt_u64_e32 vcc, s[0:1], v[20:21]
	s_and_saveexec_b64 s[0:1], vcc
	s_xor_b64 s[8:9], exec, s[0:1]
	s_cbranch_execz .LBB7_99
; %bb.92:
	v_cmp_ne_u32_e32 vcc, 0, v13
	v_pk_mov_b32 v[16:17], 0, 0
	s_and_saveexec_b64 s[12:13], vcc
	s_cbranch_execz .LBB7_98
; %bb.93:
	v_bfe_u32 v16, v13, 23, 8
	s_movk_i32 s0, 0x78
	v_and_b32_e32 v15, 0x7fffff, v13
	v_sub_u32_e64 v17, s0, v16 clamp
	v_mov_b32_e32 v21, 0x77
	v_cmp_eq_u32_e32 vcc, 0, v16
	v_or_b32_e32 v20, 0x800000, v15
	v_cndmask_b32_e32 v25, v17, v21, vcc
	v_cndmask_b32_e32 v20, v20, v15, vcc
	v_add_u32_e32 v15, 20, v25
	v_add_u32_e32 v24, 0xffffff89, v16
	v_lshlrev_b64 v[16:17], v15, -1
	v_not_b32_e32 v15, v16
	v_mov_b32_e32 v21, 0
	v_and_b32_e32 v16, v20, v15
	v_add_u32_e32 v15, 19, v25
	v_mov_b32_e32 v17, v21
	v_lshlrev_b64 v[22:23], v15, 1
	v_cmp_eq_u64_e64 s[0:1], v[16:17], v[22:23]
	v_lshrrev_b64 v[16:17], v25, v[20:21]
	v_mov_b32_e32 v15, 0xffffff8a
	v_cndmask_b32_e32 v15, v24, v15, vcc
	v_lshrrev_b32_e32 v20, 23, v16
	v_add3_u32 v22, v15, v25, v20
	v_and_b32_e32 v20, 0x100000, v16
	v_cmp_eq_u64_e32 vcc, 0, v[20:21]
	s_and_b64 vcc, vcc, s[0:1]
	v_subbrev_co_u32_e32 v15, vcc, 0, v16, vcc
	v_and_b32_e32 v15, 0xfffff, v15
	v_add_co_u32_e32 v16, vcc, v15, v16
	v_add_u32_e32 v23, -1, v22
	v_addc_co_u32_e32 v17, vcc, 0, v17, vcc
	v_cmp_ne_u32_e32 vcc, 0, v23
                                        ; implicit-def: $vgpr15
	s_and_saveexec_b64 s[0:1], vcc
	s_xor_b64 s[0:1], exec, s[0:1]
; %bb.94:
	v_and_b32_e32 v20, 0x1000000, v16
	v_cmp_eq_u64_e32 vcc, 0, v[20:21]
	v_bfe_u32 v20, v16, 24, 1
	v_cndmask_b32_e32 v15, v22, v23, vcc
	v_lshrrev_b64 v[16:17], v20, v[16:17]
; %bb.95:
	s_andn2_saveexec_b64 s[0:1], s[0:1]
; %bb.96:
	v_bfe_u32 v15, v16, 23, 1
; %bb.97:
	s_or_b64 exec, exec, s[0:1]
	s_movk_i32 s0, 0x80
	v_lshrrev_b64 v[16:17], 20, v[16:17]
	v_cmp_gt_i32_e32 vcc, 16, v15
	v_and_b32_sdwa v13, v13, s0 dst_sel:DWORD dst_unused:UNUSED_PAD src0_sel:BYTE_3 src1_sel:DWORD
	v_min_i32_e32 v20, 15, v15
	v_cndmask_b32_e32 v17, 0, v17, vcc
	v_cndmask_b32_e32 v16, 7, v16, vcc
	v_cmp_eq_u32_e32 vcc, 0, v15
	v_cmp_eq_u64_e64 s[0:1], 0, v[16:17]
	v_lshl_or_b32 v13, v20, 3, v13
	v_and_or_b32 v13, v16, 7, v13
	s_and_b64 s[0:1], vcc, s[0:1]
	v_cndmask_b32_e64 v16, v13, 0, s[0:1]
.LBB7_98:
	s_or_b64 exec, exec, s[12:13]
.LBB7_99:
	s_andn2_saveexec_b64 s[0:1], s[8:9]
	s_or_b64 exec, exec, s[0:1]
.LBB7_100:
	s_andn2_saveexec_b64 s[0:1], s[6:7]
	s_or_b64 exec, exec, s[0:1]
	v_and_b32_e32 v0, 0xffff0000, v0
	v_and_b32_e32 v4, 0xffff0000, v4
	v_mul_f32_e32 v0, v19, v0
	v_fmac_f32_e32 v0, v18, v4
	v_mul_f32_e32 v0, v32, v0
	v_min_f32_e32 v0, 0x43600000, v0
	v_max_f32_e32 v0, 0xc3600000, v0
	s_movk_i32 s0, 0x7f
	v_mov_b32_e32 v23, 0
	v_or_b32_sdwa v20, v0, s0 dst_sel:DWORD dst_unused:UNUSED_PAD src0_sel:BYTE_3 src1_sel:DWORD
	v_and_b32_e32 v22, 0x7f800000, v0
	s_mov_b64 s[0:1], 0x7f800000
	v_cmp_ne_u64_e32 vcc, s[0:1], v[22:23]
	s_and_saveexec_b64 s[0:1], vcc
	s_xor_b64 s[6:7], exec, s[0:1]
	s_cbranch_execz .LBB7_110
; %bb.101:
	v_and_b32_e32 v22, 0x7fffffff, v0
	s_mov_b64 s[0:1], 0x43700001
	v_cmp_gt_u64_e32 vcc, s[0:1], v[22:23]
	s_and_saveexec_b64 s[0:1], vcc
	s_xor_b64 s[8:9], exec, s[0:1]
	s_cbranch_execz .LBB7_109
; %bb.102:
	v_cmp_ne_u32_e32 vcc, 0, v0
	v_pk_mov_b32 v[20:21], 0, 0
	s_and_saveexec_b64 s[12:13], vcc
	s_cbranch_execz .LBB7_108
; %bb.103:
	v_bfe_u32 v13, v0, 23, 8
	s_movk_i32 s0, 0x78
	v_and_b32_e32 v4, 0x7fffff, v0
	v_sub_u32_e64 v15, s0, v13 clamp
	v_mov_b32_e32 v20, 0x77
	v_cmp_eq_u32_e32 vcc, 0, v13
	v_or_b32_e32 v17, 0x800000, v4
	v_add_u32_e32 v26, 0xffffff89, v13
	v_cndmask_b32_e32 v13, v15, v20, vcc
	v_cndmask_b32_e32 v22, v17, v4, vcc
	v_add_u32_e32 v4, 20, v13
	v_lshlrev_b64 v[20:21], v4, -1
	v_not_b32_e32 v4, v20
	v_mov_b32_e32 v23, 0
	v_and_b32_e32 v20, v22, v4
	v_add_u32_e32 v4, 19, v13
	v_mov_b32_e32 v21, v23
	v_lshlrev_b64 v[24:25], v4, 1
	v_cmp_eq_u64_e64 s[0:1], v[20:21], v[24:25]
	v_lshrrev_b64 v[20:21], v13, v[22:23]
	v_mov_b32_e32 v4, 0xffffff8a
	v_and_b32_e32 v22, 0x100000, v20
	v_cndmask_b32_e32 v4, v26, v4, vcc
	v_cmp_eq_u64_e32 vcc, 0, v[22:23]
	v_lshrrev_b32_e32 v15, 23, v20
	s_and_b64 vcc, vcc, s[0:1]
	v_add3_u32 v13, v4, v13, v15
	v_subbrev_co_u32_e32 v4, vcc, 0, v20, vcc
	v_and_b32_e32 v4, 0xfffff, v4
	v_add_co_u32_e32 v20, vcc, v4, v20
	v_add_u32_e32 v15, -1, v13
	v_addc_co_u32_e32 v21, vcc, 0, v21, vcc
	v_cmp_ne_u32_e32 vcc, 0, v15
                                        ; implicit-def: $vgpr4
	s_and_saveexec_b64 s[0:1], vcc
	s_xor_b64 s[0:1], exec, s[0:1]
; %bb.104:
	v_and_b32_e32 v22, 0x1000000, v20
	v_cmp_eq_u64_e32 vcc, 0, v[22:23]
	v_cndmask_b32_e32 v4, v13, v15, vcc
	v_bfe_u32 v13, v20, 24, 1
	v_lshrrev_b64 v[20:21], v13, v[20:21]
; %bb.105:
	s_andn2_saveexec_b64 s[0:1], s[0:1]
; %bb.106:
	v_bfe_u32 v4, v20, 23, 1
; %bb.107:
	s_or_b64 exec, exec, s[0:1]
	s_movk_i32 s0, 0x80
	v_lshrrev_b64 v[20:21], 20, v[20:21]
	v_cmp_gt_i32_e32 vcc, 16, v4
	v_and_b32_sdwa v0, v0, s0 dst_sel:DWORD dst_unused:UNUSED_PAD src0_sel:BYTE_3 src1_sel:DWORD
	v_min_i32_e32 v13, 15, v4
	v_cndmask_b32_e32 v21, 0, v21, vcc
	v_cndmask_b32_e32 v20, 7, v20, vcc
	v_cmp_eq_u32_e32 vcc, 0, v4
	v_cmp_eq_u64_e64 s[0:1], 0, v[20:21]
	v_lshl_or_b32 v0, v13, 3, v0
	v_and_or_b32 v0, v20, 7, v0
	s_and_b64 s[0:1], vcc, s[0:1]
	v_cndmask_b32_e64 v20, v0, 0, s[0:1]
.LBB7_108:
	s_or_b64 exec, exec, s[12:13]
.LBB7_109:
	s_andn2_saveexec_b64 s[0:1], s[8:9]
	s_or_b64 exec, exec, s[0:1]
.LBB7_110:
	s_andn2_saveexec_b64 s[0:1], s[6:7]
	s_or_b64 exec, exec, s[0:1]
	v_lshlrev_b32_e32 v4, 16, v1
	v_lshlrev_b32_e32 v0, 16, v5
	v_mul_f32_e32 v4, v19, v4
	v_fmac_f32_e32 v4, v18, v0
	v_mul_f32_e32 v0, v32, v4
	v_min_f32_e32 v0, 0x43600000, v0
	v_max_f32_e32 v0, 0xc3600000, v0
	s_movk_i32 s0, 0x7f
	v_mov_b32_e32 v25, 0
	v_or_b32_sdwa v22, v0, s0 dst_sel:DWORD dst_unused:UNUSED_PAD src0_sel:BYTE_3 src1_sel:DWORD
	v_and_b32_e32 v24, 0x7f800000, v0
	s_mov_b64 s[0:1], 0x7f800000
	v_cmp_ne_u64_e32 vcc, s[0:1], v[24:25]
	s_and_saveexec_b64 s[0:1], vcc
	s_xor_b64 s[6:7], exec, s[0:1]
	s_cbranch_execz .LBB7_120
; %bb.111:
	v_and_b32_e32 v24, 0x7fffffff, v0
	s_mov_b64 s[0:1], 0x43700001
	v_cmp_gt_u64_e32 vcc, s[0:1], v[24:25]
	s_and_saveexec_b64 s[0:1], vcc
	s_xor_b64 s[8:9], exec, s[0:1]
	s_cbranch_execz .LBB7_119
; %bb.112:
	v_cmp_ne_u32_e32 vcc, 0, v0
	v_pk_mov_b32 v[22:23], 0, 0
	s_and_saveexec_b64 s[12:13], vcc
	s_cbranch_execz .LBB7_118
; %bb.113:
	v_bfe_u32 v13, v0, 23, 8
	s_movk_i32 s0, 0x78
	v_and_b32_e32 v4, 0x7fffff, v0
	v_sub_u32_e64 v15, s0, v13 clamp
	v_mov_b32_e32 v22, 0x77
	v_cmp_eq_u32_e32 vcc, 0, v13
	v_or_b32_e32 v17, 0x800000, v4
	v_add_u32_e32 v21, 0xffffff89, v13
	v_cndmask_b32_e32 v13, v15, v22, vcc
	v_cndmask_b32_e32 v24, v17, v4, vcc
	v_add_u32_e32 v4, 20, v13
	v_lshlrev_b64 v[22:23], v4, -1
	v_not_b32_e32 v4, v22
	v_mov_b32_e32 v25, 0
	v_and_b32_e32 v22, v24, v4
	v_add_u32_e32 v4, 19, v13
	v_mov_b32_e32 v23, v25
	v_lshlrev_b64 v[26:27], v4, 1
	v_cmp_eq_u64_e64 s[0:1], v[22:23], v[26:27]
	v_lshrrev_b64 v[22:23], v13, v[24:25]
	v_mov_b32_e32 v4, 0xffffff8a
	v_and_b32_e32 v24, 0x100000, v22
	v_cndmask_b32_e32 v4, v21, v4, vcc
	v_cmp_eq_u64_e32 vcc, 0, v[24:25]
	v_lshrrev_b32_e32 v15, 23, v22
	s_and_b64 vcc, vcc, s[0:1]
	v_add3_u32 v13, v4, v13, v15
	v_subbrev_co_u32_e32 v4, vcc, 0, v22, vcc
	v_and_b32_e32 v4, 0xfffff, v4
	v_add_co_u32_e32 v22, vcc, v4, v22
	v_add_u32_e32 v15, -1, v13
	v_addc_co_u32_e32 v23, vcc, 0, v23, vcc
	v_cmp_ne_u32_e32 vcc, 0, v15
                                        ; implicit-def: $vgpr4
	s_and_saveexec_b64 s[0:1], vcc
	s_xor_b64 s[0:1], exec, s[0:1]
; %bb.114:
	v_and_b32_e32 v24, 0x1000000, v22
	v_cmp_eq_u64_e32 vcc, 0, v[24:25]
	v_cndmask_b32_e32 v4, v13, v15, vcc
	v_bfe_u32 v13, v22, 24, 1
	v_lshrrev_b64 v[22:23], v13, v[22:23]
; %bb.115:
	s_andn2_saveexec_b64 s[0:1], s[0:1]
; %bb.116:
	v_bfe_u32 v4, v22, 23, 1
; %bb.117:
	s_or_b64 exec, exec, s[0:1]
	s_movk_i32 s0, 0x80
	v_lshrrev_b64 v[22:23], 20, v[22:23]
	v_cmp_gt_i32_e32 vcc, 16, v4
	v_and_b32_sdwa v0, v0, s0 dst_sel:DWORD dst_unused:UNUSED_PAD src0_sel:BYTE_3 src1_sel:DWORD
	v_min_i32_e32 v13, 15, v4
	v_cndmask_b32_e32 v23, 0, v23, vcc
	v_cndmask_b32_e32 v22, 7, v22, vcc
	v_cmp_eq_u32_e32 vcc, 0, v4
	v_cmp_eq_u64_e64 s[0:1], 0, v[22:23]
	v_lshl_or_b32 v0, v13, 3, v0
	v_and_or_b32 v0, v22, 7, v0
	s_and_b64 s[0:1], vcc, s[0:1]
	v_cndmask_b32_e64 v22, v0, 0, s[0:1]
.LBB7_118:
	s_or_b64 exec, exec, s[12:13]
.LBB7_119:
	s_andn2_saveexec_b64 s[0:1], s[8:9]
	s_or_b64 exec, exec, s[0:1]
.LBB7_120:
	s_andn2_saveexec_b64 s[0:1], s[6:7]
	s_or_b64 exec, exec, s[0:1]
	v_and_b32_e32 v1, 0xffff0000, v1
	v_and_b32_e32 v0, 0xffff0000, v5
	v_mul_f32_e32 v1, v19, v1
	v_fmac_f32_e32 v1, v18, v0
	v_mul_f32_e32 v0, v32, v1
	v_min_f32_e32 v0, 0x43600000, v0
	v_max_f32_e32 v13, 0xc3600000, v0
	s_movk_i32 s0, 0x7f
	v_mov_b32_e32 v5, 0
	v_or_b32_sdwa v0, v13, s0 dst_sel:DWORD dst_unused:UNUSED_PAD src0_sel:BYTE_3 src1_sel:DWORD
	v_and_b32_e32 v4, 0x7f800000, v13
	s_mov_b64 s[0:1], 0x7f800000
	v_cmp_ne_u64_e32 vcc, s[0:1], v[4:5]
	s_and_saveexec_b64 s[0:1], vcc
	s_xor_b64 s[6:7], exec, s[0:1]
	s_cbranch_execz .LBB7_130
; %bb.121:
	v_and_b32_e32 v4, 0x7fffffff, v13
	s_mov_b64 s[0:1], 0x43700001
	v_cmp_gt_u64_e32 vcc, s[0:1], v[4:5]
	s_and_saveexec_b64 s[0:1], vcc
	s_xor_b64 s[8:9], exec, s[0:1]
	s_cbranch_execz .LBB7_129
; %bb.122:
	v_cmp_ne_u32_e32 vcc, 0, v13
	v_pk_mov_b32 v[0:1], 0, 0
	s_and_saveexec_b64 s[12:13], vcc
	s_cbranch_execz .LBB7_128
; %bb.123:
	v_bfe_u32 v1, v13, 23, 8
	s_movk_i32 s0, 0x78
	v_and_b32_e32 v0, 0x7fffff, v13
	v_sub_u32_e64 v4, s0, v1 clamp
	v_mov_b32_e32 v17, 0x77
	v_cmp_eq_u32_e32 vcc, 0, v1
	v_or_b32_e32 v5, 0x800000, v0
	v_cndmask_b32_e32 v17, v4, v17, vcc
	v_cndmask_b32_e32 v4, v5, v0, vcc
	v_add_u32_e32 v0, 20, v17
	v_add_u32_e32 v15, 0xffffff89, v1
	v_lshlrev_b64 v[0:1], v0, -1
	v_mov_b32_e32 v5, 0
	v_not_b32_e32 v0, v0
	v_add_u32_e32 v21, 19, v17
	v_and_b32_e32 v0, v4, v0
	v_mov_b32_e32 v1, v5
	v_lshlrev_b64 v[24:25], v21, 1
	v_cmp_eq_u64_e64 s[0:1], v[0:1], v[24:25]
	v_lshrrev_b64 v[0:1], v17, v[4:5]
	v_mov_b32_e32 v4, 0xffffff8a
	v_cndmask_b32_e32 v4, v15, v4, vcc
	v_lshrrev_b32_e32 v15, 23, v0
	v_add3_u32 v15, v4, v17, v15
	v_and_b32_e32 v4, 0x100000, v0
	v_cmp_eq_u64_e32 vcc, 0, v[4:5]
	s_and_b64 vcc, vcc, s[0:1]
	v_subbrev_co_u32_e32 v4, vcc, 0, v0, vcc
	v_and_b32_e32 v4, 0xfffff, v4
	v_add_co_u32_e32 v0, vcc, v4, v0
	v_add_u32_e32 v17, -1, v15
	v_addc_co_u32_e32 v1, vcc, 0, v1, vcc
	v_cmp_ne_u32_e32 vcc, 0, v17
                                        ; implicit-def: $vgpr4
	s_and_saveexec_b64 s[0:1], vcc
	s_xor_b64 s[0:1], exec, s[0:1]
; %bb.124:
	v_and_b32_e32 v4, 0x1000000, v0
	v_cmp_eq_u64_e32 vcc, 0, v[4:5]
	v_bfe_u32 v5, v0, 24, 1
	v_cndmask_b32_e32 v4, v15, v17, vcc
	v_lshrrev_b64 v[0:1], v5, v[0:1]
; %bb.125:
	s_andn2_saveexec_b64 s[0:1], s[0:1]
; %bb.126:
	v_bfe_u32 v4, v0, 23, 1
; %bb.127:
	s_or_b64 exec, exec, s[0:1]
	s_movk_i32 s0, 0x80
	v_lshrrev_b64 v[0:1], 20, v[0:1]
	v_cmp_gt_i32_e32 vcc, 16, v4
	v_and_b32_sdwa v5, v13, s0 dst_sel:DWORD dst_unused:UNUSED_PAD src0_sel:BYTE_3 src1_sel:DWORD
	v_min_i32_e32 v13, 15, v4
	v_cndmask_b32_e32 v1, 0, v1, vcc
	v_cndmask_b32_e32 v0, 7, v0, vcc
	v_cmp_eq_u32_e32 vcc, 0, v4
	v_cmp_eq_u64_e64 s[0:1], 0, v[0:1]
	v_lshl_or_b32 v1, v13, 3, v5
	v_and_or_b32 v0, v0, 7, v1
	s_and_b64 s[0:1], vcc, s[0:1]
	v_cndmask_b32_e64 v0, v0, 0, s[0:1]
.LBB7_128:
	s_or_b64 exec, exec, s[12:13]
.LBB7_129:
	s_andn2_saveexec_b64 s[0:1], s[8:9]
	s_or_b64 exec, exec, s[0:1]
.LBB7_130:
	s_andn2_saveexec_b64 s[0:1], s[6:7]
	s_or_b64 exec, exec, s[0:1]
	v_lshlrev_b32_e32 v4, 16, v2
	v_lshlrev_b32_e32 v1, 16, v6
	v_mul_f32_e32 v4, v19, v4
	v_fmac_f32_e32 v4, v18, v1
	v_mul_f32_e32 v1, v32, v4
	v_min_f32_e32 v1, 0x43600000, v1
	v_max_f32_e32 v1, 0xc3600000, v1
	s_movk_i32 s0, 0x7f
	v_mov_b32_e32 v25, 0
	v_or_b32_sdwa v4, v1, s0 dst_sel:DWORD dst_unused:UNUSED_PAD src0_sel:BYTE_3 src1_sel:DWORD
	v_and_b32_e32 v24, 0x7f800000, v1
	s_mov_b64 s[0:1], 0x7f800000
	v_cmp_ne_u64_e32 vcc, s[0:1], v[24:25]
	s_and_saveexec_b64 s[0:1], vcc
	s_xor_b64 s[6:7], exec, s[0:1]
	s_cbranch_execz .LBB7_140
; %bb.131:
	v_and_b32_e32 v24, 0x7fffffff, v1
	s_mov_b64 s[0:1], 0x43700001
	v_cmp_gt_u64_e32 vcc, s[0:1], v[24:25]
	s_and_saveexec_b64 s[0:1], vcc
	s_xor_b64 s[8:9], exec, s[0:1]
	s_cbranch_execz .LBB7_139
; %bb.132:
	v_cmp_ne_u32_e32 vcc, 0, v1
	v_pk_mov_b32 v[4:5], 0, 0
	s_and_saveexec_b64 s[12:13], vcc
	s_cbranch_execz .LBB7_138
; %bb.133:
	v_bfe_u32 v5, v1, 23, 8
	s_movk_i32 s0, 0x78
	v_and_b32_e32 v4, 0x7fffff, v1
	v_sub_u32_e64 v13, s0, v5 clamp
	v_mov_b32_e32 v21, 0x77
	v_cmp_eq_u32_e32 vcc, 0, v5
	v_or_b32_e32 v15, 0x800000, v4
	v_cndmask_b32_e32 v13, v13, v21, vcc
	v_cndmask_b32_e32 v24, v15, v4, vcc
	v_add_u32_e32 v4, 20, v13
	v_add_u32_e32 v17, 0xffffff89, v5
	v_lshlrev_b64 v[4:5], v4, -1
	v_mov_b32_e32 v25, 0
	v_not_b32_e32 v4, v4
	v_add_u32_e32 v15, 19, v13
	v_and_b32_e32 v4, v24, v4
	v_mov_b32_e32 v5, v25
	v_lshlrev_b64 v[26:27], v15, 1
	v_cmp_eq_u64_e64 s[0:1], v[4:5], v[26:27]
	v_lshrrev_b64 v[4:5], v13, v[24:25]
	v_mov_b32_e32 v15, 0xffffff8a
	v_and_b32_e32 v24, 0x100000, v4
	v_cndmask_b32_e32 v15, v17, v15, vcc
	v_cmp_eq_u64_e32 vcc, 0, v[24:25]
	v_lshrrev_b32_e32 v17, 23, v4
	s_and_b64 vcc, vcc, s[0:1]
	v_add3_u32 v15, v15, v13, v17
	v_subbrev_co_u32_e32 v13, vcc, 0, v4, vcc
	v_and_b32_e32 v13, 0xfffff, v13
	v_add_co_u32_e32 v4, vcc, v13, v4
	v_add_u32_e32 v17, -1, v15
	v_addc_co_u32_e32 v5, vcc, 0, v5, vcc
	v_cmp_ne_u32_e32 vcc, 0, v17
                                        ; implicit-def: $vgpr13
	s_and_saveexec_b64 s[0:1], vcc
	s_xor_b64 s[0:1], exec, s[0:1]
; %bb.134:
	v_and_b32_e32 v24, 0x1000000, v4
	v_cmp_eq_u64_e32 vcc, 0, v[24:25]
	v_cndmask_b32_e32 v13, v15, v17, vcc
	v_bfe_u32 v15, v4, 24, 1
	v_lshrrev_b64 v[4:5], v15, v[4:5]
; %bb.135:
	s_andn2_saveexec_b64 s[0:1], s[0:1]
; %bb.136:
	v_bfe_u32 v13, v4, 23, 1
; %bb.137:
	s_or_b64 exec, exec, s[0:1]
	s_movk_i32 s0, 0x80
	v_lshrrev_b64 v[4:5], 20, v[4:5]
	v_cmp_gt_i32_e32 vcc, 16, v13
	v_and_b32_sdwa v1, v1, s0 dst_sel:DWORD dst_unused:UNUSED_PAD src0_sel:BYTE_3 src1_sel:DWORD
	v_min_i32_e32 v15, 15, v13
	v_cndmask_b32_e32 v5, 0, v5, vcc
	v_cndmask_b32_e32 v4, 7, v4, vcc
	v_cmp_eq_u32_e32 vcc, 0, v13
	v_cmp_eq_u64_e64 s[0:1], 0, v[4:5]
	v_lshl_or_b32 v1, v15, 3, v1
	v_and_or_b32 v1, v4, 7, v1
	s_and_b64 s[0:1], vcc, s[0:1]
	v_cndmask_b32_e64 v4, v1, 0, s[0:1]
.LBB7_138:
	s_or_b64 exec, exec, s[12:13]
.LBB7_139:
	s_andn2_saveexec_b64 s[0:1], s[8:9]
	s_or_b64 exec, exec, s[0:1]
.LBB7_140:
	s_andn2_saveexec_b64 s[0:1], s[6:7]
	s_or_b64 exec, exec, s[0:1]
	v_and_b32_e32 v2, 0xffff0000, v2
	v_and_b32_e32 v1, 0xffff0000, v6
	v_mul_f32_e32 v2, v19, v2
	v_fmac_f32_e32 v2, v18, v1
	v_mul_f32_e32 v1, v32, v2
	v_min_f32_e32 v1, 0x43600000, v1
	v_max_f32_e32 v1, 0xc3600000, v1
	s_movk_i32 s0, 0x7f
	v_mov_b32_e32 v27, 0
	v_or_b32_sdwa v24, v1, s0 dst_sel:DWORD dst_unused:UNUSED_PAD src0_sel:BYTE_3 src1_sel:DWORD
	v_and_b32_e32 v26, 0x7f800000, v1
	s_mov_b64 s[0:1], 0x7f800000
	v_cmp_ne_u64_e32 vcc, s[0:1], v[26:27]
	s_and_saveexec_b64 s[0:1], vcc
	s_xor_b64 s[6:7], exec, s[0:1]
	s_cbranch_execz .LBB7_150
; %bb.141:
	v_and_b32_e32 v26, 0x7fffffff, v1
	s_mov_b64 s[0:1], 0x43700001
	v_cmp_gt_u64_e32 vcc, s[0:1], v[26:27]
	s_and_saveexec_b64 s[0:1], vcc
	s_xor_b64 s[8:9], exec, s[0:1]
	s_cbranch_execz .LBB7_149
; %bb.142:
	v_cmp_ne_u32_e32 vcc, 0, v1
	v_pk_mov_b32 v[24:25], 0, 0
	s_and_saveexec_b64 s[12:13], vcc
	s_cbranch_execz .LBB7_148
; %bb.143:
	v_bfe_u32 v5, v1, 23, 8
	s_movk_i32 s0, 0x78
	v_and_b32_e32 v2, 0x7fffff, v1
	v_sub_u32_e64 v6, s0, v5 clamp
	v_mov_b32_e32 v17, 0x77
	v_cmp_eq_u32_e32 vcc, 0, v5
	v_or_b32_e32 v13, 0x800000, v2
	v_add_u32_e32 v15, 0xffffff89, v5
	v_cndmask_b32_e32 v5, v6, v17, vcc
	v_cndmask_b32_e32 v26, v13, v2, vcc
	v_add_u32_e32 v2, 20, v5
	v_lshlrev_b64 v[24:25], v2, -1
	v_not_b32_e32 v2, v24
	v_mov_b32_e32 v27, 0
	v_and_b32_e32 v24, v26, v2
	v_add_u32_e32 v2, 19, v5
	v_mov_b32_e32 v25, v27
	v_lshlrev_b64 v[28:29], v2, 1
	v_cmp_eq_u64_e64 s[0:1], v[24:25], v[28:29]
	v_lshrrev_b64 v[24:25], v5, v[26:27]
	v_mov_b32_e32 v2, 0xffffff8a
	v_and_b32_e32 v26, 0x100000, v24
	v_cndmask_b32_e32 v2, v15, v2, vcc
	v_cmp_eq_u64_e32 vcc, 0, v[26:27]
	v_lshrrev_b32_e32 v6, 23, v24
	s_and_b64 vcc, vcc, s[0:1]
	v_add3_u32 v5, v2, v5, v6
	v_subbrev_co_u32_e32 v2, vcc, 0, v24, vcc
	v_and_b32_e32 v2, 0xfffff, v2
	v_add_co_u32_e32 v24, vcc, v2, v24
	v_add_u32_e32 v6, -1, v5
	v_addc_co_u32_e32 v25, vcc, 0, v25, vcc
	v_cmp_ne_u32_e32 vcc, 0, v6
                                        ; implicit-def: $vgpr2
	s_and_saveexec_b64 s[0:1], vcc
	s_xor_b64 s[0:1], exec, s[0:1]
; %bb.144:
	v_and_b32_e32 v26, 0x1000000, v24
	v_cmp_eq_u64_e32 vcc, 0, v[26:27]
	v_cndmask_b32_e32 v2, v5, v6, vcc
	v_bfe_u32 v5, v24, 24, 1
	v_lshrrev_b64 v[24:25], v5, v[24:25]
; %bb.145:
	s_andn2_saveexec_b64 s[0:1], s[0:1]
; %bb.146:
	v_bfe_u32 v2, v24, 23, 1
; %bb.147:
	s_or_b64 exec, exec, s[0:1]
	s_movk_i32 s0, 0x80
	v_lshrrev_b64 v[24:25], 20, v[24:25]
	v_cmp_gt_i32_e32 vcc, 16, v2
	v_and_b32_sdwa v1, v1, s0 dst_sel:DWORD dst_unused:UNUSED_PAD src0_sel:BYTE_3 src1_sel:DWORD
	v_min_i32_e32 v5, 15, v2
	v_cndmask_b32_e32 v25, 0, v25, vcc
	v_cndmask_b32_e32 v24, 7, v24, vcc
	v_cmp_eq_u32_e32 vcc, 0, v2
	v_cmp_eq_u64_e64 s[0:1], 0, v[24:25]
	v_lshl_or_b32 v1, v5, 3, v1
	v_and_or_b32 v1, v24, 7, v1
	s_and_b64 s[0:1], vcc, s[0:1]
	v_cndmask_b32_e64 v24, v1, 0, s[0:1]
.LBB7_148:
	s_or_b64 exec, exec, s[12:13]
.LBB7_149:
	s_andn2_saveexec_b64 s[0:1], s[8:9]
	s_or_b64 exec, exec, s[0:1]
.LBB7_150:
	s_andn2_saveexec_b64 s[0:1], s[6:7]
	s_or_b64 exec, exec, s[0:1]
	v_lshlrev_b32_e32 v2, 16, v3
	v_lshlrev_b32_e32 v1, 16, v7
	v_mul_f32_e32 v2, v19, v2
	v_fmac_f32_e32 v2, v18, v1
	v_mul_f32_e32 v1, v32, v2
	v_min_f32_e32 v1, 0x43600000, v1
	v_max_f32_e32 v1, 0xc3600000, v1
	s_movk_i32 s0, 0x7f
	v_mov_b32_e32 v29, 0
	v_or_b32_sdwa v26, v1, s0 dst_sel:DWORD dst_unused:UNUSED_PAD src0_sel:BYTE_3 src1_sel:DWORD
	v_and_b32_e32 v28, 0x7f800000, v1
	s_mov_b64 s[0:1], 0x7f800000
	v_cmp_ne_u64_e32 vcc, s[0:1], v[28:29]
	s_and_saveexec_b64 s[0:1], vcc
	s_xor_b64 s[6:7], exec, s[0:1]
	s_cbranch_execz .LBB7_160
; %bb.151:
	v_and_b32_e32 v28, 0x7fffffff, v1
	s_mov_b64 s[0:1], 0x43700001
	v_cmp_gt_u64_e32 vcc, s[0:1], v[28:29]
	s_and_saveexec_b64 s[0:1], vcc
	s_xor_b64 s[8:9], exec, s[0:1]
	s_cbranch_execz .LBB7_159
; %bb.152:
	v_cmp_ne_u32_e32 vcc, 0, v1
	v_pk_mov_b32 v[26:27], 0, 0
	s_and_saveexec_b64 s[12:13], vcc
	s_cbranch_execz .LBB7_158
; %bb.153:
	v_bfe_u32 v5, v1, 23, 8
	s_movk_i32 s0, 0x78
	v_and_b32_e32 v2, 0x7fffff, v1
	v_sub_u32_e64 v6, s0, v5 clamp
	v_mov_b32_e32 v17, 0x77
	v_cmp_eq_u32_e32 vcc, 0, v5
	v_or_b32_e32 v13, 0x800000, v2
	v_add_u32_e32 v15, 0xffffff89, v5
	v_cndmask_b32_e32 v5, v6, v17, vcc
	v_cndmask_b32_e32 v28, v13, v2, vcc
	v_add_u32_e32 v2, 20, v5
	v_lshlrev_b64 v[26:27], v2, -1
	v_not_b32_e32 v2, v26
	v_mov_b32_e32 v29, 0
	v_and_b32_e32 v26, v28, v2
	v_add_u32_e32 v2, 19, v5
	v_mov_b32_e32 v27, v29
	v_lshlrev_b64 v[34:35], v2, 1
	v_cmp_eq_u64_e64 s[0:1], v[26:27], v[34:35]
	v_lshrrev_b64 v[26:27], v5, v[28:29]
	v_mov_b32_e32 v2, 0xffffff8a
	v_and_b32_e32 v28, 0x100000, v26
	v_cndmask_b32_e32 v2, v15, v2, vcc
	v_cmp_eq_u64_e32 vcc, 0, v[28:29]
	v_lshrrev_b32_e32 v6, 23, v26
	s_and_b64 vcc, vcc, s[0:1]
	v_add3_u32 v5, v2, v5, v6
	v_subbrev_co_u32_e32 v2, vcc, 0, v26, vcc
	v_and_b32_e32 v2, 0xfffff, v2
	v_add_co_u32_e32 v26, vcc, v2, v26
	v_add_u32_e32 v6, -1, v5
	v_addc_co_u32_e32 v27, vcc, 0, v27, vcc
	v_cmp_ne_u32_e32 vcc, 0, v6
                                        ; implicit-def: $vgpr2
	s_and_saveexec_b64 s[0:1], vcc
	s_xor_b64 s[0:1], exec, s[0:1]
; %bb.154:
	v_and_b32_e32 v28, 0x1000000, v26
	v_cmp_eq_u64_e32 vcc, 0, v[28:29]
	v_cndmask_b32_e32 v2, v5, v6, vcc
	v_bfe_u32 v5, v26, 24, 1
	v_lshrrev_b64 v[26:27], v5, v[26:27]
; %bb.155:
	s_andn2_saveexec_b64 s[0:1], s[0:1]
; %bb.156:
	v_bfe_u32 v2, v26, 23, 1
; %bb.157:
	s_or_b64 exec, exec, s[0:1]
	s_movk_i32 s0, 0x80
	v_lshrrev_b64 v[26:27], 20, v[26:27]
	v_cmp_gt_i32_e32 vcc, 16, v2
	v_and_b32_sdwa v1, v1, s0 dst_sel:DWORD dst_unused:UNUSED_PAD src0_sel:BYTE_3 src1_sel:DWORD
	v_min_i32_e32 v5, 15, v2
	v_cndmask_b32_e32 v27, 0, v27, vcc
	v_cndmask_b32_e32 v26, 7, v26, vcc
	v_cmp_eq_u32_e32 vcc, 0, v2
	v_cmp_eq_u64_e64 s[0:1], 0, v[26:27]
	v_lshl_or_b32 v1, v5, 3, v1
	v_and_or_b32 v1, v26, 7, v1
	s_and_b64 s[0:1], vcc, s[0:1]
	v_cndmask_b32_e64 v26, v1, 0, s[0:1]
.LBB7_158:
	s_or_b64 exec, exec, s[12:13]
.LBB7_159:
	s_andn2_saveexec_b64 s[0:1], s[8:9]
	s_or_b64 exec, exec, s[0:1]
.LBB7_160:
	s_andn2_saveexec_b64 s[0:1], s[6:7]
	s_or_b64 exec, exec, s[0:1]
	v_and_b32_e32 v2, 0xffff0000, v3
	v_and_b32_e32 v1, 0xffff0000, v7
	v_mul_f32_e32 v2, v19, v2
	v_fmac_f32_e32 v2, v18, v1
	v_mul_f32_e32 v1, v32, v2
	v_min_f32_e32 v1, 0x43600000, v1
	v_max_f32_e32 v1, 0xc3600000, v1
	s_movk_i32 s0, 0x7f
	v_mov_b32_e32 v7, 0
	v_or_b32_sdwa v2, v1, s0 dst_sel:DWORD dst_unused:UNUSED_PAD src0_sel:BYTE_3 src1_sel:DWORD
	v_and_b32_e32 v6, 0x7f800000, v1
	s_mov_b64 s[0:1], 0x7f800000
	v_cmp_ne_u64_e32 vcc, s[0:1], v[6:7]
	s_and_saveexec_b64 s[0:1], vcc
	s_xor_b64 s[6:7], exec, s[0:1]
	s_cbranch_execz .LBB7_170
; %bb.161:
	v_and_b32_e32 v6, 0x7fffffff, v1
	s_mov_b64 s[0:1], 0x43700001
	v_cmp_gt_u64_e32 vcc, s[0:1], v[6:7]
	s_and_saveexec_b64 s[0:1], vcc
	s_xor_b64 s[8:9], exec, s[0:1]
	s_cbranch_execz .LBB7_169
; %bb.162:
	v_cmp_ne_u32_e32 vcc, 0, v1
	v_pk_mov_b32 v[2:3], 0, 0
	s_and_saveexec_b64 s[12:13], vcc
	s_cbranch_execz .LBB7_168
; %bb.163:
	v_bfe_u32 v3, v1, 23, 8
	s_movk_i32 s0, 0x78
	v_and_b32_e32 v2, 0x7fffff, v1
	v_sub_u32_e64 v5, s0, v3 clamp
	v_mov_b32_e32 v7, 0x77
	v_cmp_eq_u32_e32 vcc, 0, v3
	v_or_b32_e32 v6, 0x800000, v2
	v_cndmask_b32_e32 v5, v5, v7, vcc
	v_cndmask_b32_e32 v6, v6, v2, vcc
	v_add_u32_e32 v2, 20, v5
	v_add_u32_e32 v13, 0xffffff89, v3
	v_lshlrev_b64 v[2:3], v2, -1
	v_mov_b32_e32 v7, 0
	v_not_b32_e32 v2, v2
	v_add_u32_e32 v15, 19, v5
	v_and_b32_e32 v2, v6, v2
	v_mov_b32_e32 v3, v7
	v_lshlrev_b64 v[18:19], v15, 1
	v_cmp_eq_u64_e64 s[0:1], v[2:3], v[18:19]
	v_lshrrev_b64 v[2:3], v5, v[6:7]
	v_mov_b32_e32 v6, 0xffffff8a
	v_cndmask_b32_e32 v6, v13, v6, vcc
	v_lshrrev_b32_e32 v13, 23, v2
	v_add3_u32 v13, v6, v5, v13
	v_and_b32_e32 v6, 0x100000, v2
	v_cmp_eq_u64_e32 vcc, 0, v[6:7]
	s_and_b64 vcc, vcc, s[0:1]
	v_subbrev_co_u32_e32 v5, vcc, 0, v2, vcc
	v_and_b32_e32 v5, 0xfffff, v5
	v_add_co_u32_e32 v2, vcc, v5, v2
	v_add_u32_e32 v15, -1, v13
	v_addc_co_u32_e32 v3, vcc, 0, v3, vcc
	v_cmp_ne_u32_e32 vcc, 0, v15
                                        ; implicit-def: $vgpr5
	s_and_saveexec_b64 s[0:1], vcc
	s_xor_b64 s[0:1], exec, s[0:1]
; %bb.164:
	v_and_b32_e32 v6, 0x1000000, v2
	v_cmp_eq_u64_e32 vcc, 0, v[6:7]
	v_bfe_u32 v6, v2, 24, 1
	v_cndmask_b32_e32 v5, v13, v15, vcc
	v_lshrrev_b64 v[2:3], v6, v[2:3]
; %bb.165:
	s_andn2_saveexec_b64 s[0:1], s[0:1]
; %bb.166:
	v_bfe_u32 v5, v2, 23, 1
; %bb.167:
	s_or_b64 exec, exec, s[0:1]
	s_movk_i32 s0, 0x80
	v_lshrrev_b64 v[2:3], 20, v[2:3]
	v_cmp_gt_i32_e32 vcc, 16, v5
	v_and_b32_sdwa v1, v1, s0 dst_sel:DWORD dst_unused:UNUSED_PAD src0_sel:BYTE_3 src1_sel:DWORD
	v_min_i32_e32 v6, 15, v5
	v_cndmask_b32_e32 v3, 0, v3, vcc
	v_cndmask_b32_e32 v2, 7, v2, vcc
	v_cmp_eq_u32_e32 vcc, 0, v5
	v_cmp_eq_u64_e64 s[0:1], 0, v[2:3]
	v_lshl_or_b32 v1, v6, 3, v1
	v_and_or_b32 v1, v2, 7, v1
	s_and_b64 s[0:1], vcc, s[0:1]
	v_cndmask_b32_e64 v2, v1, 0, s[0:1]
.LBB7_168:
	s_or_b64 exec, exec, s[12:13]
.LBB7_169:
	s_andn2_saveexec_b64 s[0:1], s[8:9]
	s_or_b64 exec, exec, s[0:1]
.LBB7_170:
	s_andn2_saveexec_b64 s[0:1], s[6:7]
	s_or_b64 exec, exec, s[0:1]
	v_lshlrev_b32_e32 v1, 24, v2
	v_lshlrev_b32_e32 v2, 16, v26
	v_and_b32_e32 v2, 0xff0000, v2
	v_or_b32_e32 v1, v1, v2
	v_lshlrev_b32_e32 v2, 8, v24
	v_and_b32_e32 v2, 0xff00, v2
	v_and_b32_e32 v3, 0xff, v4
	v_or3_b32 v1, v1, v2, v3
	v_lshlrev_b32_e32 v2, 16, v22
	s_mov_b32 s1, 0x4020c0c
	v_lshlrev_b64 v[6:7], 3, v[8:9]
	s_mov_b32 s0, 0xff00
	v_lshlrev_b32_e32 v3, 8, v20
	v_perm_b32 v0, v0, v2, s1
	v_add_co_u32_e32 v6, vcc, v30, v6
	v_and_or_b32 v0, v3, s0, v0
	v_addc_co_u32_e32 v7, vcc, v31, v7, vcc
	v_or_b32_sdwa v0, v0, v16 dst_sel:DWORD dst_unused:UNUSED_PAD src0_sel:DWORD src1_sel:BYTE_0
	global_store_dwordx2 v[6:7], v[0:1], off
.LBB7_171:
	s_or_b64 exec, exec, s[4:5]
	s_cmp_lg_u64 s[10:11], 0
	s_cselect_b64 s[0:1], -1, 0
	v_cmp_eq_u32_e32 vcc, 0, v8
	s_and_b64 s[0:1], s[0:1], vcc
	s_and_saveexec_b64 s[4:5], s[0:1]
	s_cbranch_execz .LBB7_173
; %bb.172:
	s_mov_b32 s0, 0x800000
	v_mov_b32_e32 v0, 0x4f800000
	v_cmp_gt_f32_e32 vcc, s0, v14
	v_cndmask_b32_e32 v0, 1.0, v0, vcc
	v_mul_f32_e32 v0, v14, v0
	v_log_f32_e32 v2, v0
	v_mov_b32_e32 v1, s11
	v_add_co_u32_e64 v0, s[0:1], s10, v10
	v_addc_co_u32_e64 v1, s[0:1], v1, v11, s[0:1]
	s_mov_b32 s0, 0x3f317217
	v_mul_f32_e32 v3, 0x3f317217, v2
	v_fma_f32 v4, v2, s0, -v3
	v_fmac_f32_e32 v4, 0x3377d1cf, v2
	s_mov_b32 s0, 0x7f800000
	v_add_f32_e32 v3, v3, v4
	v_cmp_lt_f32_e64 s[0:1], |v2|, s0
	v_cndmask_b32_e64 v2, v2, v3, s[0:1]
	v_mov_b32_e32 v3, 0x41b17218
	v_cndmask_b32_e32 v3, 0, v3, vcc
	v_sub_f32_e32 v2, v2, v3
	v_add_f32_e32 v2, v12, v2
	global_store_dword v[0:1], v2, off
.LBB7_173:
	s_or_b64 exec, exec, s[4:5]
                                        ; implicit-def: $vgpr12
                                        ; implicit-def: $vgpr10_vgpr11
                                        ; implicit-def: $vgpr4
                                        ; implicit-def: $vgpr5
                                        ; implicit-def: $vgpr8
                                        ; implicit-def: $vgpr6
                                        ; implicit-def: $vgpr32
                                        ; implicit-def: $vgpr30
                                        ; implicit-def: $vgpr31
.LBB7_174:
	s_andn2_saveexec_b64 s[0:1], s[2:3]
	s_cbranch_execz .LBB7_259
; %bb.175:
	v_cmp_gt_u32_e32 vcc, s18, v6
	s_and_saveexec_b64 s[2:3], vcc
	s_cbranch_execz .LBB7_257
; %bb.176:
	v_mov_b32_e32 v9, 0
	v_lshlrev_b64 v[0:1], 4, v[8:9]
	v_add_co_u32_e32 v0, vcc, v4, v0
	v_addc_co_u32_e32 v1, vcc, v5, v1, vcc
	global_load_dwordx4 v[0:3], v[0:1], off
	s_movk_i32 s0, 0x7f
	v_mov_b32_e32 v7, v9
	s_waitcnt vmcnt(0)
	v_lshlrev_b32_e32 v4, 16, v0
	v_mul_f32_e32 v4, v32, v4
	v_min_f32_e32 v4, 0x43600000, v4
	v_max_f32_e32 v13, 0xc3600000, v4
	v_or_b32_sdwa v4, v13, s0 dst_sel:DWORD dst_unused:UNUSED_PAD src0_sel:BYTE_3 src1_sel:DWORD
	v_and_b32_e32 v6, 0x7f800000, v13
	s_mov_b64 s[0:1], 0x7f800000
	v_cmp_ne_u64_e32 vcc, s[0:1], v[6:7]
	s_and_saveexec_b64 s[0:1], vcc
	s_xor_b64 s[4:5], exec, s[0:1]
	s_cbranch_execz .LBB7_186
; %bb.177:
	v_and_b32_e32 v6, 0x7fffffff, v13
	v_mov_b32_e32 v7, v9
	s_mov_b64 s[0:1], 0x43700001
	v_cmp_gt_u64_e32 vcc, s[0:1], v[6:7]
	s_and_saveexec_b64 s[0:1], vcc
	s_xor_b64 s[6:7], exec, s[0:1]
	s_cbranch_execz .LBB7_185
; %bb.178:
	v_cmp_ne_u32_e32 vcc, 0, v13
	v_pk_mov_b32 v[4:5], 0, 0
	s_and_saveexec_b64 s[8:9], vcc
	s_cbranch_execz .LBB7_184
; %bb.179:
	v_bfe_u32 v5, v13, 23, 8
	s_movk_i32 s0, 0x78
	v_and_b32_e32 v4, 0x7fffff, v13
	v_sub_u32_e64 v6, s0, v5 clamp
	v_mov_b32_e32 v14, 0x77
	v_cmp_eq_u32_e32 vcc, 0, v5
	v_or_b32_e32 v7, 0x800000, v4
	v_cndmask_b32_e32 v17, v6, v14, vcc
	v_cndmask_b32_e32 v6, v7, v4, vcc
	v_add_u32_e32 v4, 20, v17
	v_add_u32_e32 v16, 0xffffff89, v5
	v_lshlrev_b64 v[4:5], v4, -1
	v_mov_b32_e32 v7, 0
	v_not_b32_e32 v4, v4
	v_add_u32_e32 v14, 19, v17
	v_and_b32_e32 v4, v6, v4
	v_mov_b32_e32 v5, v7
	v_lshlrev_b64 v[14:15], v14, 1
	v_cmp_eq_u64_e64 s[0:1], v[4:5], v[14:15]
	v_lshrrev_b64 v[4:5], v17, v[6:7]
	v_mov_b32_e32 v6, 0xffffff8a
	v_cndmask_b32_e32 v6, v16, v6, vcc
	v_lshrrev_b32_e32 v14, 23, v4
	v_add3_u32 v14, v6, v17, v14
	v_and_b32_e32 v6, 0x100000, v4
	v_cmp_eq_u64_e32 vcc, 0, v[6:7]
	s_and_b64 vcc, vcc, s[0:1]
	v_subbrev_co_u32_e32 v6, vcc, 0, v4, vcc
	v_and_b32_e32 v6, 0xfffff, v6
	v_add_co_u32_e32 v4, vcc, v6, v4
	v_add_u32_e32 v15, -1, v14
	v_addc_co_u32_e32 v5, vcc, 0, v5, vcc
	v_cmp_ne_u32_e32 vcc, 0, v15
                                        ; implicit-def: $vgpr6
	s_and_saveexec_b64 s[0:1], vcc
	s_xor_b64 s[0:1], exec, s[0:1]
; %bb.180:
	v_and_b32_e32 v6, 0x1000000, v4
	v_cmp_eq_u64_e32 vcc, 0, v[6:7]
	v_bfe_u32 v7, v4, 24, 1
	v_cndmask_b32_e32 v6, v14, v15, vcc
	v_lshrrev_b64 v[4:5], v7, v[4:5]
; %bb.181:
	s_andn2_saveexec_b64 s[0:1], s[0:1]
; %bb.182:
	v_bfe_u32 v6, v4, 23, 1
; %bb.183:
	s_or_b64 exec, exec, s[0:1]
	s_movk_i32 s0, 0x80
	v_lshrrev_b64 v[4:5], 20, v[4:5]
	v_cmp_gt_i32_e32 vcc, 16, v6
	v_and_b32_sdwa v7, v13, s0 dst_sel:DWORD dst_unused:UNUSED_PAD src0_sel:BYTE_3 src1_sel:DWORD
	v_min_i32_e32 v13, 15, v6
	v_cndmask_b32_e32 v5, 0, v5, vcc
	v_cndmask_b32_e32 v4, 7, v4, vcc
	v_cmp_eq_u32_e32 vcc, 0, v6
	v_cmp_eq_u64_e64 s[0:1], 0, v[4:5]
	v_lshl_or_b32 v5, v13, 3, v7
	v_and_or_b32 v4, v4, 7, v5
	s_and_b64 s[0:1], vcc, s[0:1]
	v_cndmask_b32_e64 v4, v4, 0, s[0:1]
.LBB7_184:
	s_or_b64 exec, exec, s[8:9]
.LBB7_185:
	s_andn2_saveexec_b64 s[0:1], s[6:7]
	s_or_b64 exec, exec, s[0:1]
.LBB7_186:
	s_andn2_saveexec_b64 s[0:1], s[4:5]
	s_or_b64 exec, exec, s[0:1]
	v_and_b32_e32 v0, 0xffff0000, v0
	v_mul_f32_e32 v0, v32, v0
	v_min_f32_e32 v0, 0x43600000, v0
	v_max_f32_e32 v0, 0xc3600000, v0
	s_movk_i32 s0, 0x7f
	v_mov_b32_e32 v15, 0
	v_or_b32_sdwa v6, v0, s0 dst_sel:DWORD dst_unused:UNUSED_PAD src0_sel:BYTE_3 src1_sel:DWORD
	v_and_b32_e32 v14, 0x7f800000, v0
	s_mov_b64 s[0:1], 0x7f800000
	v_cmp_ne_u64_e32 vcc, s[0:1], v[14:15]
	s_and_saveexec_b64 s[0:1], vcc
	s_xor_b64 s[4:5], exec, s[0:1]
	s_cbranch_execz .LBB7_196
; %bb.187:
	v_and_b32_e32 v14, 0x7fffffff, v0
	s_mov_b64 s[0:1], 0x43700001
	v_cmp_gt_u64_e32 vcc, s[0:1], v[14:15]
	s_and_saveexec_b64 s[0:1], vcc
	s_xor_b64 s[6:7], exec, s[0:1]
	s_cbranch_execz .LBB7_195
; %bb.188:
	v_cmp_ne_u32_e32 vcc, 0, v0
	v_pk_mov_b32 v[6:7], 0, 0
	s_and_saveexec_b64 s[8:9], vcc
	s_cbranch_execz .LBB7_194
; %bb.189:
	v_bfe_u32 v6, v0, 23, 8
	s_movk_i32 s0, 0x78
	v_and_b32_e32 v5, 0x7fffff, v0
	v_sub_u32_e64 v7, s0, v6 clamp
	v_mov_b32_e32 v14, 0x77
	v_cmp_eq_u32_e32 vcc, 0, v6
	v_or_b32_e32 v13, 0x800000, v5
	v_cndmask_b32_e32 v19, v7, v14, vcc
	v_cndmask_b32_e32 v14, v13, v5, vcc
	v_add_u32_e32 v5, 20, v19
	v_add_u32_e32 v18, 0xffffff89, v6
	v_lshlrev_b64 v[6:7], v5, -1
	v_not_b32_e32 v5, v6
	v_mov_b32_e32 v15, 0
	v_and_b32_e32 v6, v14, v5
	v_add_u32_e32 v5, 19, v19
	v_mov_b32_e32 v7, v15
	v_lshlrev_b64 v[16:17], v5, 1
	v_cmp_eq_u64_e64 s[0:1], v[6:7], v[16:17]
	v_lshrrev_b64 v[6:7], v19, v[14:15]
	v_mov_b32_e32 v5, 0xffffff8a
	v_and_b32_e32 v14, 0x100000, v6
	v_cndmask_b32_e32 v5, v18, v5, vcc
	v_cmp_eq_u64_e32 vcc, 0, v[14:15]
	v_lshrrev_b32_e32 v13, 23, v6
	s_and_b64 vcc, vcc, s[0:1]
	v_add3_u32 v13, v5, v19, v13
	v_subbrev_co_u32_e32 v5, vcc, 0, v6, vcc
	v_and_b32_e32 v5, 0xfffff, v5
	v_add_co_u32_e32 v6, vcc, v5, v6
	v_add_u32_e32 v16, -1, v13
	v_addc_co_u32_e32 v7, vcc, 0, v7, vcc
	v_cmp_ne_u32_e32 vcc, 0, v16
                                        ; implicit-def: $vgpr5
	s_and_saveexec_b64 s[0:1], vcc
	s_xor_b64 s[0:1], exec, s[0:1]
; %bb.190:
	v_and_b32_e32 v14, 0x1000000, v6
	v_cmp_eq_u64_e32 vcc, 0, v[14:15]
	v_cndmask_b32_e32 v5, v13, v16, vcc
	v_bfe_u32 v13, v6, 24, 1
	v_lshrrev_b64 v[6:7], v13, v[6:7]
; %bb.191:
	s_andn2_saveexec_b64 s[0:1], s[0:1]
; %bb.192:
	v_bfe_u32 v5, v6, 23, 1
; %bb.193:
	s_or_b64 exec, exec, s[0:1]
	s_movk_i32 s0, 0x80
	v_lshrrev_b64 v[6:7], 20, v[6:7]
	v_cmp_gt_i32_e32 vcc, 16, v5
	v_and_b32_sdwa v0, v0, s0 dst_sel:DWORD dst_unused:UNUSED_PAD src0_sel:BYTE_3 src1_sel:DWORD
	v_min_i32_e32 v13, 15, v5
	v_cndmask_b32_e32 v7, 0, v7, vcc
	v_cndmask_b32_e32 v6, 7, v6, vcc
	v_cmp_eq_u32_e32 vcc, 0, v5
	v_cmp_eq_u64_e64 s[0:1], 0, v[6:7]
	v_lshl_or_b32 v0, v13, 3, v0
	v_and_or_b32 v0, v6, 7, v0
	s_and_b64 s[0:1], vcc, s[0:1]
	v_cndmask_b32_e64 v6, v0, 0, s[0:1]
.LBB7_194:
	s_or_b64 exec, exec, s[8:9]
.LBB7_195:
	s_andn2_saveexec_b64 s[0:1], s[6:7]
	s_or_b64 exec, exec, s[0:1]
.LBB7_196:
	s_andn2_saveexec_b64 s[0:1], s[4:5]
	s_or_b64 exec, exec, s[0:1]
	v_lshlrev_b32_e32 v0, 16, v1
	v_mul_f32_e32 v0, v32, v0
	v_min_f32_e32 v0, 0x43600000, v0
	v_max_f32_e32 v0, 0xc3600000, v0
	s_movk_i32 s0, 0x7f
	v_mov_b32_e32 v17, 0
	v_or_b32_sdwa v14, v0, s0 dst_sel:DWORD dst_unused:UNUSED_PAD src0_sel:BYTE_3 src1_sel:DWORD
	v_and_b32_e32 v16, 0x7f800000, v0
	s_mov_b64 s[0:1], 0x7f800000
	v_cmp_ne_u64_e32 vcc, s[0:1], v[16:17]
	s_and_saveexec_b64 s[0:1], vcc
	s_xor_b64 s[4:5], exec, s[0:1]
	s_cbranch_execz .LBB7_206
; %bb.197:
	v_and_b32_e32 v16, 0x7fffffff, v0
	s_mov_b64 s[0:1], 0x43700001
	v_cmp_gt_u64_e32 vcc, s[0:1], v[16:17]
	s_and_saveexec_b64 s[0:1], vcc
	s_xor_b64 s[6:7], exec, s[0:1]
	s_cbranch_execz .LBB7_205
; %bb.198:
	v_cmp_ne_u32_e32 vcc, 0, v0
	v_pk_mov_b32 v[14:15], 0, 0
	s_and_saveexec_b64 s[8:9], vcc
	s_cbranch_execz .LBB7_204
; %bb.199:
	v_bfe_u32 v7, v0, 23, 8
	s_movk_i32 s0, 0x78
	v_and_b32_e32 v5, 0x7fffff, v0
	v_sub_u32_e64 v13, s0, v7 clamp
	v_mov_b32_e32 v15, 0x77
	v_cmp_eq_u32_e32 vcc, 0, v7
	v_or_b32_e32 v14, 0x800000, v5
	v_add_u32_e32 v20, 0xffffff89, v7
	v_cndmask_b32_e32 v7, v13, v15, vcc
	v_cndmask_b32_e32 v16, v14, v5, vcc
	v_add_u32_e32 v5, 20, v7
	v_lshlrev_b64 v[14:15], v5, -1
	v_not_b32_e32 v5, v14
	v_mov_b32_e32 v17, 0
	v_and_b32_e32 v14, v16, v5
	v_add_u32_e32 v5, 19, v7
	v_mov_b32_e32 v15, v17
	v_lshlrev_b64 v[18:19], v5, 1
	v_cmp_eq_u64_e64 s[0:1], v[14:15], v[18:19]
	v_lshrrev_b64 v[14:15], v7, v[16:17]
	v_mov_b32_e32 v5, 0xffffff8a
	v_and_b32_e32 v16, 0x100000, v14
	v_cndmask_b32_e32 v5, v20, v5, vcc
	v_cmp_eq_u64_e32 vcc, 0, v[16:17]
	v_lshrrev_b32_e32 v13, 23, v14
	s_and_b64 vcc, vcc, s[0:1]
	v_add3_u32 v7, v5, v7, v13
	v_subbrev_co_u32_e32 v5, vcc, 0, v14, vcc
	v_and_b32_e32 v5, 0xfffff, v5
	v_add_co_u32_e32 v14, vcc, v5, v14
	v_add_u32_e32 v13, -1, v7
	v_addc_co_u32_e32 v15, vcc, 0, v15, vcc
	v_cmp_ne_u32_e32 vcc, 0, v13
                                        ; implicit-def: $vgpr5
	s_and_saveexec_b64 s[0:1], vcc
	s_xor_b64 s[0:1], exec, s[0:1]
; %bb.200:
	v_and_b32_e32 v16, 0x1000000, v14
	v_cmp_eq_u64_e32 vcc, 0, v[16:17]
	v_cndmask_b32_e32 v5, v7, v13, vcc
	v_bfe_u32 v7, v14, 24, 1
	v_lshrrev_b64 v[14:15], v7, v[14:15]
; %bb.201:
	s_andn2_saveexec_b64 s[0:1], s[0:1]
; %bb.202:
	v_bfe_u32 v5, v14, 23, 1
; %bb.203:
	s_or_b64 exec, exec, s[0:1]
	s_movk_i32 s0, 0x80
	v_lshrrev_b64 v[14:15], 20, v[14:15]
	v_cmp_gt_i32_e32 vcc, 16, v5
	v_and_b32_sdwa v0, v0, s0 dst_sel:DWORD dst_unused:UNUSED_PAD src0_sel:BYTE_3 src1_sel:DWORD
	v_min_i32_e32 v7, 15, v5
	v_cndmask_b32_e32 v15, 0, v15, vcc
	v_cndmask_b32_e32 v14, 7, v14, vcc
	v_cmp_eq_u32_e32 vcc, 0, v5
	v_cmp_eq_u64_e64 s[0:1], 0, v[14:15]
	v_lshl_or_b32 v0, v7, 3, v0
	v_and_or_b32 v0, v14, 7, v0
	s_and_b64 s[0:1], vcc, s[0:1]
	v_cndmask_b32_e64 v14, v0, 0, s[0:1]
.LBB7_204:
	s_or_b64 exec, exec, s[8:9]
.LBB7_205:
	s_andn2_saveexec_b64 s[0:1], s[6:7]
	s_or_b64 exec, exec, s[0:1]
.LBB7_206:
	s_andn2_saveexec_b64 s[0:1], s[4:5]
	s_or_b64 exec, exec, s[0:1]
	v_and_b32_e32 v0, 0xffff0000, v1
	v_mul_f32_e32 v0, v32, v0
	v_min_f32_e32 v0, 0x43600000, v0
	v_max_f32_e32 v5, 0xc3600000, v0
	s_movk_i32 s0, 0x7f
	v_mov_b32_e32 v17, 0
	v_or_b32_sdwa v0, v5, s0 dst_sel:DWORD dst_unused:UNUSED_PAD src0_sel:BYTE_3 src1_sel:DWORD
	v_and_b32_e32 v16, 0x7f800000, v5
	s_mov_b64 s[0:1], 0x7f800000
	v_cmp_ne_u64_e32 vcc, s[0:1], v[16:17]
	s_and_saveexec_b64 s[0:1], vcc
	s_xor_b64 s[4:5], exec, s[0:1]
	s_cbranch_execz .LBB7_216
; %bb.207:
	v_and_b32_e32 v16, 0x7fffffff, v5
	s_mov_b64 s[0:1], 0x43700001
	v_cmp_gt_u64_e32 vcc, s[0:1], v[16:17]
	s_and_saveexec_b64 s[0:1], vcc
	s_xor_b64 s[6:7], exec, s[0:1]
	s_cbranch_execz .LBB7_215
; %bb.208:
	v_cmp_ne_u32_e32 vcc, 0, v5
	v_pk_mov_b32 v[0:1], 0, 0
	s_and_saveexec_b64 s[8:9], vcc
	s_cbranch_execz .LBB7_214
; %bb.209:
	v_bfe_u32 v1, v5, 23, 8
	s_movk_i32 s0, 0x78
	v_and_b32_e32 v0, 0x7fffff, v5
	v_sub_u32_e64 v7, s0, v1 clamp
	v_mov_b32_e32 v16, 0x77
	v_cmp_eq_u32_e32 vcc, 0, v1
	v_or_b32_e32 v13, 0x800000, v0
	v_cndmask_b32_e32 v7, v7, v16, vcc
	v_cndmask_b32_e32 v16, v13, v0, vcc
	v_add_u32_e32 v0, 20, v7
	v_add_u32_e32 v15, 0xffffff89, v1
	v_lshlrev_b64 v[0:1], v0, -1
	v_mov_b32_e32 v17, 0
	v_not_b32_e32 v0, v0
	v_add_u32_e32 v13, 19, v7
	v_and_b32_e32 v0, v16, v0
	v_mov_b32_e32 v1, v17
	v_lshlrev_b64 v[18:19], v13, 1
	v_cmp_eq_u64_e64 s[0:1], v[0:1], v[18:19]
	v_lshrrev_b64 v[0:1], v7, v[16:17]
	v_mov_b32_e32 v13, 0xffffff8a
	v_and_b32_e32 v16, 0x100000, v0
	v_cndmask_b32_e32 v13, v15, v13, vcc
	v_cmp_eq_u64_e32 vcc, 0, v[16:17]
	v_lshrrev_b32_e32 v15, 23, v0
	s_and_b64 vcc, vcc, s[0:1]
	v_add3_u32 v13, v13, v7, v15
	v_subbrev_co_u32_e32 v7, vcc, 0, v0, vcc
	v_and_b32_e32 v7, 0xfffff, v7
	v_add_co_u32_e32 v0, vcc, v7, v0
	v_add_u32_e32 v15, -1, v13
	v_addc_co_u32_e32 v1, vcc, 0, v1, vcc
	v_cmp_ne_u32_e32 vcc, 0, v15
                                        ; implicit-def: $vgpr7
	s_and_saveexec_b64 s[0:1], vcc
	s_xor_b64 s[0:1], exec, s[0:1]
; %bb.210:
	v_and_b32_e32 v16, 0x1000000, v0
	v_cmp_eq_u64_e32 vcc, 0, v[16:17]
	v_cndmask_b32_e32 v7, v13, v15, vcc
	v_bfe_u32 v13, v0, 24, 1
	v_lshrrev_b64 v[0:1], v13, v[0:1]
; %bb.211:
	s_andn2_saveexec_b64 s[0:1], s[0:1]
; %bb.212:
	v_bfe_u32 v7, v0, 23, 1
; %bb.213:
	s_or_b64 exec, exec, s[0:1]
	s_movk_i32 s0, 0x80
	v_lshrrev_b64 v[0:1], 20, v[0:1]
	v_cmp_gt_i32_e32 vcc, 16, v7
	v_and_b32_sdwa v5, v5, s0 dst_sel:DWORD dst_unused:UNUSED_PAD src0_sel:BYTE_3 src1_sel:DWORD
	v_min_i32_e32 v13, 15, v7
	v_cndmask_b32_e32 v1, 0, v1, vcc
	v_cndmask_b32_e32 v0, 7, v0, vcc
	v_cmp_eq_u32_e32 vcc, 0, v7
	v_cmp_eq_u64_e64 s[0:1], 0, v[0:1]
	v_lshl_or_b32 v1, v13, 3, v5
	v_and_or_b32 v0, v0, 7, v1
	s_and_b64 s[0:1], vcc, s[0:1]
	v_cndmask_b32_e64 v0, v0, 0, s[0:1]
.LBB7_214:
	s_or_b64 exec, exec, s[8:9]
.LBB7_215:
	s_andn2_saveexec_b64 s[0:1], s[6:7]
	s_or_b64 exec, exec, s[0:1]
.LBB7_216:
	s_andn2_saveexec_b64 s[0:1], s[4:5]
	s_or_b64 exec, exec, s[0:1]
	v_lshlrev_b32_e32 v1, 16, v2
	v_mul_f32_e32 v1, v32, v1
	v_min_f32_e32 v1, 0x43600000, v1
	v_max_f32_e32 v1, 0xc3600000, v1
	s_movk_i32 s0, 0x7f
	v_mov_b32_e32 v19, 0
	v_or_b32_sdwa v16, v1, s0 dst_sel:DWORD dst_unused:UNUSED_PAD src0_sel:BYTE_3 src1_sel:DWORD
	v_and_b32_e32 v18, 0x7f800000, v1
	s_mov_b64 s[0:1], 0x7f800000
	v_cmp_ne_u64_e32 vcc, s[0:1], v[18:19]
	s_and_saveexec_b64 s[0:1], vcc
	s_xor_b64 s[4:5], exec, s[0:1]
	s_cbranch_execz .LBB7_226
; %bb.217:
	v_and_b32_e32 v18, 0x7fffffff, v1
	s_mov_b64 s[0:1], 0x43700001
	v_cmp_gt_u64_e32 vcc, s[0:1], v[18:19]
	s_and_saveexec_b64 s[0:1], vcc
	s_xor_b64 s[6:7], exec, s[0:1]
	s_cbranch_execz .LBB7_225
; %bb.218:
	v_cmp_ne_u32_e32 vcc, 0, v1
	v_pk_mov_b32 v[16:17], 0, 0
	s_and_saveexec_b64 s[8:9], vcc
	s_cbranch_execz .LBB7_224
; %bb.219:
	v_bfe_u32 v7, v1, 23, 8
	s_movk_i32 s0, 0x78
	v_and_b32_e32 v5, 0x7fffff, v1
	v_sub_u32_e64 v13, s0, v7 clamp
	v_mov_b32_e32 v16, 0x77
	v_cmp_eq_u32_e32 vcc, 0, v7
	v_or_b32_e32 v15, 0x800000, v5
	v_add_u32_e32 v22, 0xffffff89, v7
	v_cndmask_b32_e32 v7, v13, v16, vcc
	v_cndmask_b32_e32 v18, v15, v5, vcc
	v_add_u32_e32 v5, 20, v7
	v_lshlrev_b64 v[16:17], v5, -1
	v_not_b32_e32 v5, v16
	v_mov_b32_e32 v19, 0
	v_and_b32_e32 v16, v18, v5
	v_add_u32_e32 v5, 19, v7
	v_mov_b32_e32 v17, v19
	v_lshlrev_b64 v[20:21], v5, 1
	v_cmp_eq_u64_e64 s[0:1], v[16:17], v[20:21]
	v_lshrrev_b64 v[16:17], v7, v[18:19]
	v_mov_b32_e32 v5, 0xffffff8a
	v_and_b32_e32 v18, 0x100000, v16
	v_cndmask_b32_e32 v5, v22, v5, vcc
	v_cmp_eq_u64_e32 vcc, 0, v[18:19]
	v_lshrrev_b32_e32 v13, 23, v16
	s_and_b64 vcc, vcc, s[0:1]
	v_add3_u32 v7, v5, v7, v13
	v_subbrev_co_u32_e32 v5, vcc, 0, v16, vcc
	v_and_b32_e32 v5, 0xfffff, v5
	v_add_co_u32_e32 v16, vcc, v5, v16
	v_add_u32_e32 v13, -1, v7
	v_addc_co_u32_e32 v17, vcc, 0, v17, vcc
	v_cmp_ne_u32_e32 vcc, 0, v13
                                        ; implicit-def: $vgpr5
	s_and_saveexec_b64 s[0:1], vcc
	s_xor_b64 s[0:1], exec, s[0:1]
; %bb.220:
	v_and_b32_e32 v18, 0x1000000, v16
	v_cmp_eq_u64_e32 vcc, 0, v[18:19]
	v_cndmask_b32_e32 v5, v7, v13, vcc
	v_bfe_u32 v7, v16, 24, 1
	v_lshrrev_b64 v[16:17], v7, v[16:17]
; %bb.221:
	s_andn2_saveexec_b64 s[0:1], s[0:1]
; %bb.222:
	v_bfe_u32 v5, v16, 23, 1
; %bb.223:
	s_or_b64 exec, exec, s[0:1]
	s_movk_i32 s0, 0x80
	v_lshrrev_b64 v[16:17], 20, v[16:17]
	v_cmp_gt_i32_e32 vcc, 16, v5
	v_and_b32_sdwa v1, v1, s0 dst_sel:DWORD dst_unused:UNUSED_PAD src0_sel:BYTE_3 src1_sel:DWORD
	v_min_i32_e32 v7, 15, v5
	v_cndmask_b32_e32 v17, 0, v17, vcc
	v_cndmask_b32_e32 v16, 7, v16, vcc
	v_cmp_eq_u32_e32 vcc, 0, v5
	v_cmp_eq_u64_e64 s[0:1], 0, v[16:17]
	v_lshl_or_b32 v1, v7, 3, v1
	v_and_or_b32 v1, v16, 7, v1
	s_and_b64 s[0:1], vcc, s[0:1]
	v_cndmask_b32_e64 v16, v1, 0, s[0:1]
.LBB7_224:
	s_or_b64 exec, exec, s[8:9]
.LBB7_225:
	s_andn2_saveexec_b64 s[0:1], s[6:7]
	s_or_b64 exec, exec, s[0:1]
.LBB7_226:
	s_andn2_saveexec_b64 s[0:1], s[4:5]
	s_or_b64 exec, exec, s[0:1]
	v_and_b32_e32 v1, 0xffff0000, v2
	v_mul_f32_e32 v1, v32, v1
	v_min_f32_e32 v1, 0x43600000, v1
	v_max_f32_e32 v1, 0xc3600000, v1
	s_movk_i32 s0, 0x7f
	v_mov_b32_e32 v21, 0
	v_or_b32_sdwa v18, v1, s0 dst_sel:DWORD dst_unused:UNUSED_PAD src0_sel:BYTE_3 src1_sel:DWORD
	v_and_b32_e32 v20, 0x7f800000, v1
	s_mov_b64 s[0:1], 0x7f800000
	v_cmp_ne_u64_e32 vcc, s[0:1], v[20:21]
	s_and_saveexec_b64 s[0:1], vcc
	s_xor_b64 s[4:5], exec, s[0:1]
	s_cbranch_execz .LBB7_236
; %bb.227:
	v_and_b32_e32 v20, 0x7fffffff, v1
	s_mov_b64 s[0:1], 0x43700001
	v_cmp_gt_u64_e32 vcc, s[0:1], v[20:21]
	s_and_saveexec_b64 s[0:1], vcc
	s_xor_b64 s[6:7], exec, s[0:1]
	s_cbranch_execz .LBB7_235
; %bb.228:
	v_cmp_ne_u32_e32 vcc, 0, v1
	v_pk_mov_b32 v[18:19], 0, 0
	s_and_saveexec_b64 s[8:9], vcc
	s_cbranch_execz .LBB7_234
; %bb.229:
	v_bfe_u32 v5, v1, 23, 8
	s_movk_i32 s0, 0x78
	v_and_b32_e32 v2, 0x7fffff, v1
	v_sub_u32_e64 v7, s0, v5 clamp
	v_mov_b32_e32 v17, 0x77
	v_cmp_eq_u32_e32 vcc, 0, v5
	v_or_b32_e32 v13, 0x800000, v2
	v_add_u32_e32 v15, 0xffffff89, v5
	v_cndmask_b32_e32 v5, v7, v17, vcc
	v_cndmask_b32_e32 v20, v13, v2, vcc
	v_add_u32_e32 v2, 20, v5
	v_lshlrev_b64 v[18:19], v2, -1
	v_not_b32_e32 v2, v18
	v_mov_b32_e32 v21, 0
	v_and_b32_e32 v18, v20, v2
	v_add_u32_e32 v2, 19, v5
	v_mov_b32_e32 v19, v21
	v_lshlrev_b64 v[22:23], v2, 1
	v_cmp_eq_u64_e64 s[0:1], v[18:19], v[22:23]
	v_lshrrev_b64 v[18:19], v5, v[20:21]
	v_mov_b32_e32 v2, 0xffffff8a
	v_and_b32_e32 v20, 0x100000, v18
	v_cndmask_b32_e32 v2, v15, v2, vcc
	v_cmp_eq_u64_e32 vcc, 0, v[20:21]
	v_lshrrev_b32_e32 v7, 23, v18
	s_and_b64 vcc, vcc, s[0:1]
	v_add3_u32 v5, v2, v5, v7
	v_subbrev_co_u32_e32 v2, vcc, 0, v18, vcc
	v_and_b32_e32 v2, 0xfffff, v2
	v_add_co_u32_e32 v18, vcc, v2, v18
	v_add_u32_e32 v7, -1, v5
	v_addc_co_u32_e32 v19, vcc, 0, v19, vcc
	v_cmp_ne_u32_e32 vcc, 0, v7
                                        ; implicit-def: $vgpr2
	s_and_saveexec_b64 s[0:1], vcc
	s_xor_b64 s[0:1], exec, s[0:1]
; %bb.230:
	v_and_b32_e32 v20, 0x1000000, v18
	v_cmp_eq_u64_e32 vcc, 0, v[20:21]
	v_cndmask_b32_e32 v2, v5, v7, vcc
	v_bfe_u32 v5, v18, 24, 1
	v_lshrrev_b64 v[18:19], v5, v[18:19]
; %bb.231:
	s_andn2_saveexec_b64 s[0:1], s[0:1]
; %bb.232:
	v_bfe_u32 v2, v18, 23, 1
; %bb.233:
	s_or_b64 exec, exec, s[0:1]
	s_movk_i32 s0, 0x80
	v_lshrrev_b64 v[18:19], 20, v[18:19]
	v_cmp_gt_i32_e32 vcc, 16, v2
	v_and_b32_sdwa v1, v1, s0 dst_sel:DWORD dst_unused:UNUSED_PAD src0_sel:BYTE_3 src1_sel:DWORD
	v_min_i32_e32 v5, 15, v2
	v_cndmask_b32_e32 v19, 0, v19, vcc
	v_cndmask_b32_e32 v18, 7, v18, vcc
	v_cmp_eq_u32_e32 vcc, 0, v2
	v_cmp_eq_u64_e64 s[0:1], 0, v[18:19]
	v_lshl_or_b32 v1, v5, 3, v1
	v_and_or_b32 v1, v18, 7, v1
	s_and_b64 s[0:1], vcc, s[0:1]
	v_cndmask_b32_e64 v18, v1, 0, s[0:1]
.LBB7_234:
	s_or_b64 exec, exec, s[8:9]
.LBB7_235:
	s_andn2_saveexec_b64 s[0:1], s[6:7]
	s_or_b64 exec, exec, s[0:1]
.LBB7_236:
	s_andn2_saveexec_b64 s[0:1], s[4:5]
	s_or_b64 exec, exec, s[0:1]
	v_lshlrev_b32_e32 v1, 16, v3
	v_mul_f32_e32 v1, v32, v1
	v_min_f32_e32 v1, 0x43600000, v1
	v_max_f32_e32 v1, 0xc3600000, v1
	s_movk_i32 s0, 0x7f
	v_mov_b32_e32 v23, 0
	v_or_b32_sdwa v20, v1, s0 dst_sel:DWORD dst_unused:UNUSED_PAD src0_sel:BYTE_3 src1_sel:DWORD
	v_and_b32_e32 v22, 0x7f800000, v1
	s_mov_b64 s[0:1], 0x7f800000
	v_cmp_ne_u64_e32 vcc, s[0:1], v[22:23]
	s_and_saveexec_b64 s[0:1], vcc
	s_xor_b64 s[4:5], exec, s[0:1]
	s_cbranch_execz .LBB7_246
; %bb.237:
	v_and_b32_e32 v22, 0x7fffffff, v1
	s_mov_b64 s[0:1], 0x43700001
	v_cmp_gt_u64_e32 vcc, s[0:1], v[22:23]
	s_and_saveexec_b64 s[0:1], vcc
	s_xor_b64 s[6:7], exec, s[0:1]
	s_cbranch_execz .LBB7_245
; %bb.238:
	v_cmp_ne_u32_e32 vcc, 0, v1
	v_pk_mov_b32 v[20:21], 0, 0
	s_and_saveexec_b64 s[8:9], vcc
	s_cbranch_execz .LBB7_244
; %bb.239:
	v_bfe_u32 v5, v1, 23, 8
	s_movk_i32 s0, 0x78
	v_and_b32_e32 v2, 0x7fffff, v1
	v_sub_u32_e64 v7, s0, v5 clamp
	v_mov_b32_e32 v17, 0x77
	v_cmp_eq_u32_e32 vcc, 0, v5
	v_or_b32_e32 v13, 0x800000, v2
	v_add_u32_e32 v15, 0xffffff89, v5
	v_cndmask_b32_e32 v5, v7, v17, vcc
	v_cndmask_b32_e32 v22, v13, v2, vcc
	v_add_u32_e32 v2, 20, v5
	v_lshlrev_b64 v[20:21], v2, -1
	v_not_b32_e32 v2, v20
	v_mov_b32_e32 v23, 0
	v_and_b32_e32 v20, v22, v2
	v_add_u32_e32 v2, 19, v5
	v_mov_b32_e32 v21, v23
	v_lshlrev_b64 v[24:25], v2, 1
	v_cmp_eq_u64_e64 s[0:1], v[20:21], v[24:25]
	v_lshrrev_b64 v[20:21], v5, v[22:23]
	v_mov_b32_e32 v2, 0xffffff8a
	v_and_b32_e32 v22, 0x100000, v20
	v_cndmask_b32_e32 v2, v15, v2, vcc
	v_cmp_eq_u64_e32 vcc, 0, v[22:23]
	v_lshrrev_b32_e32 v7, 23, v20
	s_and_b64 vcc, vcc, s[0:1]
	v_add3_u32 v5, v2, v5, v7
	v_subbrev_co_u32_e32 v2, vcc, 0, v20, vcc
	v_and_b32_e32 v2, 0xfffff, v2
	v_add_co_u32_e32 v20, vcc, v2, v20
	v_add_u32_e32 v7, -1, v5
	v_addc_co_u32_e32 v21, vcc, 0, v21, vcc
	v_cmp_ne_u32_e32 vcc, 0, v7
                                        ; implicit-def: $vgpr2
	s_and_saveexec_b64 s[0:1], vcc
	s_xor_b64 s[0:1], exec, s[0:1]
; %bb.240:
	v_and_b32_e32 v22, 0x1000000, v20
	v_cmp_eq_u64_e32 vcc, 0, v[22:23]
	v_cndmask_b32_e32 v2, v5, v7, vcc
	v_bfe_u32 v5, v20, 24, 1
	v_lshrrev_b64 v[20:21], v5, v[20:21]
; %bb.241:
	s_andn2_saveexec_b64 s[0:1], s[0:1]
; %bb.242:
	v_bfe_u32 v2, v20, 23, 1
; %bb.243:
	s_or_b64 exec, exec, s[0:1]
	s_movk_i32 s0, 0x80
	v_lshrrev_b64 v[20:21], 20, v[20:21]
	v_cmp_gt_i32_e32 vcc, 16, v2
	v_and_b32_sdwa v1, v1, s0 dst_sel:DWORD dst_unused:UNUSED_PAD src0_sel:BYTE_3 src1_sel:DWORD
	v_min_i32_e32 v5, 15, v2
	v_cndmask_b32_e32 v21, 0, v21, vcc
	v_cndmask_b32_e32 v20, 7, v20, vcc
	v_cmp_eq_u32_e32 vcc, 0, v2
	v_cmp_eq_u64_e64 s[0:1], 0, v[20:21]
	v_lshl_or_b32 v1, v5, 3, v1
	v_and_or_b32 v1, v20, 7, v1
	s_and_b64 s[0:1], vcc, s[0:1]
	v_cndmask_b32_e64 v20, v1, 0, s[0:1]
.LBB7_244:
	s_or_b64 exec, exec, s[8:9]
.LBB7_245:
	s_andn2_saveexec_b64 s[0:1], s[6:7]
	s_or_b64 exec, exec, s[0:1]
.LBB7_246:
	s_andn2_saveexec_b64 s[0:1], s[4:5]
	s_or_b64 exec, exec, s[0:1]
	v_and_b32_e32 v1, 0xffff0000, v3
	v_mul_f32_e32 v1, v32, v1
	v_min_f32_e32 v1, 0x43600000, v1
	v_max_f32_e32 v1, 0xc3600000, v1
	s_movk_i32 s0, 0x7f
	v_mov_b32_e32 v23, 0
	v_or_b32_sdwa v2, v1, s0 dst_sel:DWORD dst_unused:UNUSED_PAD src0_sel:BYTE_3 src1_sel:DWORD
	v_and_b32_e32 v22, 0x7f800000, v1
	s_mov_b64 s[0:1], 0x7f800000
	v_cmp_ne_u64_e32 vcc, s[0:1], v[22:23]
	s_and_saveexec_b64 s[0:1], vcc
	s_xor_b64 s[4:5], exec, s[0:1]
	s_cbranch_execz .LBB7_256
; %bb.247:
	v_and_b32_e32 v22, 0x7fffffff, v1
	s_mov_b64 s[0:1], 0x43700001
	v_cmp_gt_u64_e32 vcc, s[0:1], v[22:23]
	s_and_saveexec_b64 s[0:1], vcc
	s_xor_b64 s[6:7], exec, s[0:1]
	s_cbranch_execz .LBB7_255
; %bb.248:
	v_cmp_ne_u32_e32 vcc, 0, v1
	v_pk_mov_b32 v[2:3], 0, 0
	s_and_saveexec_b64 s[8:9], vcc
	s_cbranch_execz .LBB7_254
; %bb.249:
	v_bfe_u32 v3, v1, 23, 8
	s_movk_i32 s0, 0x78
	v_and_b32_e32 v2, 0x7fffff, v1
	v_sub_u32_e64 v5, s0, v3 clamp
	v_mov_b32_e32 v15, 0x77
	v_cmp_eq_u32_e32 vcc, 0, v3
	v_or_b32_e32 v7, 0x800000, v2
	v_cndmask_b32_e32 v5, v5, v15, vcc
	v_cndmask_b32_e32 v22, v7, v2, vcc
	v_add_u32_e32 v2, 20, v5
	v_add_u32_e32 v13, 0xffffff89, v3
	v_lshlrev_b64 v[2:3], v2, -1
	v_mov_b32_e32 v23, 0
	v_not_b32_e32 v2, v2
	v_add_u32_e32 v7, 19, v5
	v_and_b32_e32 v2, v22, v2
	v_mov_b32_e32 v3, v23
	v_lshlrev_b64 v[24:25], v7, 1
	v_cmp_eq_u64_e64 s[0:1], v[2:3], v[24:25]
	v_lshrrev_b64 v[2:3], v5, v[22:23]
	v_mov_b32_e32 v7, 0xffffff8a
	v_and_b32_e32 v22, 0x100000, v2
	v_cndmask_b32_e32 v7, v13, v7, vcc
	v_cmp_eq_u64_e32 vcc, 0, v[22:23]
	v_lshrrev_b32_e32 v13, 23, v2
	s_and_b64 vcc, vcc, s[0:1]
	v_add3_u32 v7, v7, v5, v13
	v_subbrev_co_u32_e32 v5, vcc, 0, v2, vcc
	v_and_b32_e32 v5, 0xfffff, v5
	v_add_co_u32_e32 v2, vcc, v5, v2
	v_add_u32_e32 v13, -1, v7
	v_addc_co_u32_e32 v3, vcc, 0, v3, vcc
	v_cmp_ne_u32_e32 vcc, 0, v13
                                        ; implicit-def: $vgpr5
	s_and_saveexec_b64 s[0:1], vcc
	s_xor_b64 s[0:1], exec, s[0:1]
; %bb.250:
	v_and_b32_e32 v22, 0x1000000, v2
	v_cmp_eq_u64_e32 vcc, 0, v[22:23]
	v_cndmask_b32_e32 v5, v7, v13, vcc
	v_bfe_u32 v7, v2, 24, 1
	v_lshrrev_b64 v[2:3], v7, v[2:3]
; %bb.251:
	s_andn2_saveexec_b64 s[0:1], s[0:1]
; %bb.252:
	v_bfe_u32 v5, v2, 23, 1
; %bb.253:
	s_or_b64 exec, exec, s[0:1]
	s_movk_i32 s0, 0x80
	v_lshrrev_b64 v[2:3], 20, v[2:3]
	v_cmp_gt_i32_e32 vcc, 16, v5
	v_and_b32_sdwa v1, v1, s0 dst_sel:DWORD dst_unused:UNUSED_PAD src0_sel:BYTE_3 src1_sel:DWORD
	v_min_i32_e32 v7, 15, v5
	v_cndmask_b32_e32 v3, 0, v3, vcc
	v_cndmask_b32_e32 v2, 7, v2, vcc
	v_cmp_eq_u32_e32 vcc, 0, v5
	v_cmp_eq_u64_e64 s[0:1], 0, v[2:3]
	v_lshl_or_b32 v1, v7, 3, v1
	v_and_or_b32 v1, v2, 7, v1
	s_and_b64 s[0:1], vcc, s[0:1]
	v_cndmask_b32_e64 v2, v1, 0, s[0:1]
.LBB7_254:
	s_or_b64 exec, exec, s[8:9]
.LBB7_255:
	s_andn2_saveexec_b64 s[0:1], s[6:7]
	s_or_b64 exec, exec, s[0:1]
.LBB7_256:
	s_andn2_saveexec_b64 s[0:1], s[4:5]
	s_or_b64 exec, exec, s[0:1]
	v_lshlrev_b32_e32 v1, 24, v2
	v_lshlrev_b32_e32 v2, 16, v20
	v_and_b32_e32 v2, 0xff0000, v2
	v_or_b32_e32 v1, v1, v2
	v_lshlrev_b32_e32 v2, 8, v18
	v_and_b32_e32 v2, 0xff00, v2
	v_and_b32_e32 v3, 0xff, v16
	v_or3_b32 v1, v1, v2, v3
	v_lshlrev_b32_e32 v2, 16, v14
	s_mov_b32 s1, 0x4020c0c
	v_lshlrev_b64 v[22:23], 3, v[8:9]
	s_mov_b32 s0, 0xff00
	v_lshlrev_b32_e32 v3, 8, v6
	v_perm_b32 v0, v0, v2, s1
	v_add_co_u32_e32 v22, vcc, v30, v22
	v_and_or_b32 v0, v3, s0, v0
	v_addc_co_u32_e32 v23, vcc, v31, v23, vcc
	v_or_b32_sdwa v0, v0, v4 dst_sel:DWORD dst_unused:UNUSED_PAD src0_sel:DWORD src1_sel:BYTE_0
	global_store_dwordx2 v[22:23], v[0:1], off
.LBB7_257:
	s_or_b64 exec, exec, s[2:3]
	s_cmp_lg_u64 s[10:11], 0
	s_cselect_b64 s[0:1], -1, 0
	v_cmp_eq_u32_e32 vcc, 0, v8
	s_and_b64 s[0:1], s[0:1], vcc
	s_and_saveexec_b64 s[2:3], s[0:1]
	s_cbranch_execz .LBB7_259
; %bb.258:
	v_mov_b32_e32 v1, s11
	v_add_co_u32_e32 v0, vcc, s10, v10
	v_addc_co_u32_e32 v1, vcc, v1, v11, vcc
	global_store_dword v[0:1], v12, off
.LBB7_259:
	s_endpgm
	.section	.rodata,"a",@progbits
	.p2align	6, 0x0
	.amdhsa_kernel _ZN4vllm24merge_attn_states_kernelI14__hip_bfloat16N3c1015Float8_e4m3fnuzELj128ELb1EEEvPT0_PfPKT_PKfS9_SB_jjjjjjSB_
		.amdhsa_group_segment_fixed_size 0
		.amdhsa_private_segment_fixed_size 0
		.amdhsa_kernarg_size 80
		.amdhsa_user_sgpr_count 6
		.amdhsa_user_sgpr_private_segment_buffer 1
		.amdhsa_user_sgpr_dispatch_ptr 0
		.amdhsa_user_sgpr_queue_ptr 0
		.amdhsa_user_sgpr_kernarg_segment_ptr 1
		.amdhsa_user_sgpr_dispatch_id 0
		.amdhsa_user_sgpr_flat_scratch_init 0
		.amdhsa_user_sgpr_kernarg_preload_length 0
		.amdhsa_user_sgpr_kernarg_preload_offset 0
		.amdhsa_user_sgpr_private_segment_size 0
		.amdhsa_uses_dynamic_stack 0
		.amdhsa_system_sgpr_private_segment_wavefront_offset 0
		.amdhsa_system_sgpr_workgroup_id_x 1
		.amdhsa_system_sgpr_workgroup_id_y 0
		.amdhsa_system_sgpr_workgroup_id_z 0
		.amdhsa_system_sgpr_workgroup_info 0
		.amdhsa_system_vgpr_workitem_id 0
		.amdhsa_next_free_vgpr 36
		.amdhsa_next_free_sgpr 24
		.amdhsa_accum_offset 36
		.amdhsa_reserve_vcc 1
		.amdhsa_reserve_flat_scratch 0
		.amdhsa_float_round_mode_32 0
		.amdhsa_float_round_mode_16_64 0
		.amdhsa_float_denorm_mode_32 3
		.amdhsa_float_denorm_mode_16_64 3
		.amdhsa_dx10_clamp 1
		.amdhsa_ieee_mode 1
		.amdhsa_fp16_overflow 0
		.amdhsa_tg_split 0
		.amdhsa_exception_fp_ieee_invalid_op 0
		.amdhsa_exception_fp_denorm_src 0
		.amdhsa_exception_fp_ieee_div_zero 0
		.amdhsa_exception_fp_ieee_overflow 0
		.amdhsa_exception_fp_ieee_underflow 0
		.amdhsa_exception_fp_ieee_inexact 0
		.amdhsa_exception_int_div_zero 0
	.end_amdhsa_kernel
	.section	.text._ZN4vllm24merge_attn_states_kernelI14__hip_bfloat16N3c1015Float8_e4m3fnuzELj128ELb1EEEvPT0_PfPKT_PKfS9_SB_jjjjjjSB_,"axG",@progbits,_ZN4vllm24merge_attn_states_kernelI14__hip_bfloat16N3c1015Float8_e4m3fnuzELj128ELb1EEEvPT0_PfPKT_PKfS9_SB_jjjjjjSB_,comdat
.Lfunc_end7:
	.size	_ZN4vllm24merge_attn_states_kernelI14__hip_bfloat16N3c1015Float8_e4m3fnuzELj128ELb1EEEvPT0_PfPKT_PKfS9_SB_jjjjjjSB_, .Lfunc_end7-_ZN4vllm24merge_attn_states_kernelI14__hip_bfloat16N3c1015Float8_e4m3fnuzELj128ELb1EEEvPT0_PfPKT_PKfS9_SB_jjjjjjSB_
                                        ; -- End function
	.section	.AMDGPU.csdata,"",@progbits
; Kernel info:
; codeLenInByte = 13092
; NumSgprs: 28
; NumVgprs: 36
; NumAgprs: 0
; TotalNumVgprs: 36
; ScratchSize: 0
; MemoryBound: 0
; FloatMode: 240
; IeeeMode: 1
; LDSByteSize: 0 bytes/workgroup (compile time only)
; SGPRBlocks: 3
; VGPRBlocks: 4
; NumSGPRsForWavesPerEU: 28
; NumVGPRsForWavesPerEU: 36
; AccumOffset: 36
; Occupancy: 8
; WaveLimiterHint : 0
; COMPUTE_PGM_RSRC2:SCRATCH_EN: 0
; COMPUTE_PGM_RSRC2:USER_SGPR: 6
; COMPUTE_PGM_RSRC2:TRAP_HANDLER: 0
; COMPUTE_PGM_RSRC2:TGID_X_EN: 1
; COMPUTE_PGM_RSRC2:TGID_Y_EN: 0
; COMPUTE_PGM_RSRC2:TGID_Z_EN: 0
; COMPUTE_PGM_RSRC2:TIDIG_COMP_CNT: 0
; COMPUTE_PGM_RSRC3_GFX90A:ACCUM_OFFSET: 8
; COMPUTE_PGM_RSRC3_GFX90A:TG_SPLIT: 0
	.section	.text._ZN4vllm24merge_attn_states_kernelI14__hip_bfloat16S1_Lj128ELb0EEEvPT0_PfPKT_PKfS7_S9_jjjjjjS9_,"axG",@progbits,_ZN4vllm24merge_attn_states_kernelI14__hip_bfloat16S1_Lj128ELb0EEEvPT0_PfPKT_PKfS7_S9_jjjjjjS9_,comdat
	.protected	_ZN4vllm24merge_attn_states_kernelI14__hip_bfloat16S1_Lj128ELb0EEEvPT0_PfPKT_PKfS7_S9_jjjjjjS9_ ; -- Begin function _ZN4vllm24merge_attn_states_kernelI14__hip_bfloat16S1_Lj128ELb0EEEvPT0_PfPKT_PKfS7_S9_jjjjjjS9_
	.globl	_ZN4vllm24merge_attn_states_kernelI14__hip_bfloat16S1_Lj128ELb0EEEvPT0_PfPKT_PKfS7_S9_jjjjjjS9_
	.p2align	8
	.type	_ZN4vllm24merge_attn_states_kernelI14__hip_bfloat16S1_Lj128ELb0EEEvPT0_PfPKT_PKfS7_S9_jjjjjjS9_,@function
_ZN4vllm24merge_attn_states_kernelI14__hip_bfloat16S1_Lj128ELb0EEEvPT0_PfPKT_PKfS7_S9_jjjjjjS9_: ; @_ZN4vllm24merge_attn_states_kernelI14__hip_bfloat16S1_Lj128ELb0EEEvPT0_PfPKT_PKfS7_S9_jjjjjjS9_
; %bb.0:
	s_load_dwordx4 s[0:3], s[4:5], 0x30
	v_lshl_add_u32 v0, s6, 7, v0
	s_waitcnt lgkmcnt(0)
	s_lshr_b32 s6, s2, 3
	s_mul_i32 s7, s1, s0
	s_mul_i32 s7, s7, s6
	v_cmp_gt_u32_e32 vcc, s7, v0
	s_and_saveexec_b64 s[8:9], vcc
	s_cbranch_execz .LBB8_51
; %bb.1:
	v_cvt_f32_u32_e32 v1, s6
	s_load_dwordx8 s[8:15], s[4:5], 0x0
	s_load_dwordx2 s[20:21], s[4:5], 0x40
	s_load_dwordx4 s[16:19], s[4:5], 0x20
	s_sub_i32 s4, 0, s6
	v_rcp_iflag_f32_e32 v1, v1
	v_cvt_f32_u32_e32 v2, s1
	v_mov_b32_e32 v11, 0
	s_waitcnt lgkmcnt(0)
	v_mov_b32_e32 v5, s17
	v_mul_f32_e32 v1, 0x4f7ffffe, v1
	v_cvt_u32_f32_e32 v1, v1
	v_rcp_iflag_f32_e32 v2, v2
	v_mov_b32_e32 v13, v11
	v_mov_b32_e32 v7, s9
	v_mul_lo_u32 v3, s4, v1
	v_mul_hi_u32 v3, v1, v3
	v_add_u32_e32 v1, v1, v3
	v_mul_hi_u32 v1, v0, v1
	v_mul_lo_u32 v3, v1, s6
	v_sub_u32_e32 v3, v0, v3
	v_add_u32_e32 v4, 1, v1
	v_cmp_le_u32_e32 vcc, s6, v3
	v_cndmask_b32_e32 v1, v1, v4, vcc
	v_subrev_u32_e32 v4, s6, v3
	v_cndmask_b32_e32 v3, v3, v4, vcc
	v_add_u32_e32 v4, 1, v1
	v_cmp_le_u32_e32 vcc, s6, v3
	v_cndmask_b32_e32 v3, v1, v4, vcc
	v_mul_f32_e32 v1, 0x4f7ffffe, v2
	v_cvt_u32_f32_e32 v1, v1
	v_mul_lo_u32 v2, v3, s6
	s_sub_i32 s4, 0, s1
	v_sub_u32_e32 v8, v0, v2
	v_mul_lo_u32 v0, s4, v1
	v_mul_hi_u32 v0, v1, v0
	v_add_u32_e32 v0, v1, v0
	v_mul_hi_u32 v0, v3, v0
	v_mul_lo_u32 v1, v0, s1
	v_sub_u32_e32 v1, v3, v1
	v_add_u32_e32 v2, 1, v0
	v_cmp_le_u32_e32 vcc, s1, v1
	v_cndmask_b32_e32 v0, v0, v2, vcc
	v_subrev_u32_e32 v2, s1, v1
	v_cndmask_b32_e32 v1, v1, v2, vcc
	v_add_u32_e32 v2, 1, v0
	v_cmp_le_u32_e32 vcc, s1, v1
	v_cndmask_b32_e32 v0, v0, v2, vcc
	v_mul_lo_u32 v1, v0, s1
	v_mul_lo_u32 v10, v3, s3
	v_sub_u32_e32 v1, v3, v1
	v_mul_lo_u32 v12, v3, s20
	v_lshlrev_b64 v[2:3], 1, v[10:11]
	v_add_co_u32_e32 v4, vcc, s16, v2
	v_addc_co_u32_e32 v5, vcc, v5, v3, vcc
	v_lshlrev_b64 v[10:11], 1, v[12:13]
	v_add_co_u32_e32 v13, vcc, s8, v10
	v_addc_co_u32_e32 v22, vcc, v7, v11, vcc
	v_lshlrev_b32_e32 v6, 3, v8
	v_cmp_le_u32_e32 vcc, s21, v0
	s_and_saveexec_b64 s[4:5], vcc
	s_xor_b64 s[4:5], exec, s[4:5]
	s_cbranch_execz .LBB8_7
; %bb.2:
	v_cmp_gt_u32_e32 vcc, s2, v6
	s_and_saveexec_b64 s[6:7], vcc
	s_cbranch_execz .LBB8_4
; %bb.3:
	v_mov_b32_e32 v9, 0
	v_lshlrev_b64 v[6:7], 4, v[8:9]
	v_add_co_u32_e32 v2, vcc, v4, v6
	v_addc_co_u32_e32 v3, vcc, v5, v7, vcc
	global_load_dwordx4 v[2:5], v[2:3], off
	v_add_co_u32_e32 v6, vcc, v13, v6
	v_addc_co_u32_e32 v7, vcc, v22, v7, vcc
	s_waitcnt vmcnt(0)
	global_store_dwordx4 v[6:7], v[2:5], off
.LBB8_4:
	s_or_b64 exec, exec, s[6:7]
	s_cmp_lg_u64 s[10:11], 0
	s_cselect_b64 s[6:7], -1, 0
	v_cmp_eq_u32_e32 vcc, 0, v8
	s_and_b64 s[8:9], s[6:7], vcc
	s_and_saveexec_b64 s[6:7], s[8:9]
	s_cbranch_execz .LBB8_6
; %bb.5:
	v_mad_u64_u32 v[0:1], s[8:9], v1, s0, v[0:1]
	v_mov_b32_e32 v1, 0
	v_lshlrev_b64 v[0:1], 2, v[0:1]
	v_mov_b32_e32 v3, s19
	v_add_co_u32_e32 v2, vcc, s18, v0
	v_addc_co_u32_e32 v3, vcc, v3, v1, vcc
	global_load_dword v2, v[2:3], off
	v_mov_b32_e32 v3, s11
	v_add_co_u32_e32 v0, vcc, s10, v0
	v_addc_co_u32_e32 v1, vcc, v3, v1, vcc
	s_waitcnt vmcnt(0)
	global_store_dword v[0:1], v2, off
.LBB8_6:
	s_or_b64 exec, exec, s[6:7]
                                        ; implicit-def: $vgpr8
                                        ; implicit-def: $vgpr0
                                        ; implicit-def: $vgpr1
                                        ; implicit-def: $vgpr6
                                        ; implicit-def: $vgpr2_vgpr3
                                        ; implicit-def: $vgpr4
                                        ; implicit-def: $vgpr5
                                        ; implicit-def: $vgpr13
                                        ; implicit-def: $vgpr22
.LBB8_7:
	s_andn2_saveexec_b64 s[4:5], s[4:5]
	s_cbranch_execz .LBB8_51
; %bb.8:
	v_mad_u64_u32 v[0:1], s[0:1], v1, s0, v[0:1]
	v_mov_b32_e32 v1, 0
	v_lshlrev_b64 v[10:11], 2, v[0:1]
	v_mov_b32_e32 v1, s15
	v_add_co_u32_e32 v0, vcc, s14, v10
	v_addc_co_u32_e32 v1, vcc, v1, v11, vcc
	global_load_dword v7, v[0:1], off
	v_mov_b32_e32 v1, s19
	v_add_co_u32_e32 v0, vcc, s18, v10
	v_addc_co_u32_e32 v1, vcc, v1, v11, vcc
	global_load_dword v1, v[0:1], off
	v_mov_b32_e32 v0, s13
	v_add_co_u32_e32 v2, vcc, s12, v2
	v_mov_b32_e32 v9, 0x204
	v_addc_co_u32_e32 v3, vcc, v0, v3, vcc
	v_mov_b32_e32 v12, 0xff800000
	s_mov_b32 s3, 0x7f800000
	s_waitcnt vmcnt(1)
	v_cmp_class_f32_e32 vcc, v7, v9
	v_cndmask_b32_e32 v0, v7, v12, vcc
	v_max_f32_e32 v7, v0, v0
	s_waitcnt vmcnt(0)
	v_cmp_class_f32_e32 vcc, v1, v9
	v_cndmask_b32_e32 v1, v1, v12, vcc
	v_max_f32_e32 v9, v1, v1
	v_max_f32_e32 v12, v7, v9
	v_cmp_neq_f32_e64 s[0:1], |v12|, s3
	s_and_saveexec_b64 s[4:5], s[0:1]
	s_xor_b64 s[4:5], exec, s[4:5]
	s_cbranch_execz .LBB8_46
; %bb.9:
	v_pk_add_f32 v[0:1], v[0:1], v[12:13] op_sel_hi:[1,0] neg_lo:[0,1] neg_hi:[0,1]
	s_mov_b32 s0, 0x3fb8aa3b
	v_mul_f32_e32 v7, 0x3fb8aa3b, v1
	v_fma_f32 v9, v1, s0, -v7
	v_rndne_f32_e32 v14, v7
	v_fmac_f32_e32 v9, 0x32a5705f, v1
	v_sub_f32_e32 v7, v7, v14
	v_add_f32_e32 v7, v7, v9
	v_exp_f32_e32 v7, v7
	v_cvt_i32_f32_e32 v9, v14
	s_mov_b32 s1, 0xc2ce8ed0
	v_cmp_ngt_f32_e32 vcc, s1, v1
	s_mov_b32 s6, 0x42b17218
	v_ldexp_f32 v7, v7, v9
	v_mul_f32_e32 v9, 0x3fb8aa3b, v0
	v_fma_f32 v14, v0, s0, -v9
	v_rndne_f32_e32 v15, v9
	v_fmac_f32_e32 v14, 0x32a5705f, v0
	v_sub_f32_e32 v9, v9, v15
	v_add_f32_e32 v9, v9, v14
	v_exp_f32_e32 v9, v9
	v_cvt_i32_f32_e32 v14, v15
	v_cndmask_b32_e32 v7, 0, v7, vcc
	v_mov_b32_e32 v15, 0x7f800000
	v_cmp_nlt_f32_e32 vcc, s6, v1
	v_cndmask_b32_e32 v19, v15, v7, vcc
	v_ldexp_f32 v1, v9, v14
	v_cmp_ngt_f32_e32 vcc, s1, v0
	v_cndmask_b32_e32 v1, 0, v1, vcc
	v_cmp_nlt_f32_e32 vcc, s6, v0
	v_cndmask_b32_e32 v18, v15, v1, vcc
	v_mov_b32_e32 v0, v19
	v_pk_add_f32 v[14:15], v[18:19], v[0:1] op_sel_hi:[1,0]
	v_cmp_gt_u32_e32 vcc, s2, v6
	s_and_saveexec_b64 s[6:7], vcc
	s_cbranch_execz .LBB8_43
; %bb.10:
	v_mov_b32_e32 v9, 0
	v_lshlrev_b64 v[16:17], 4, v[8:9]
	v_add_co_u32_e32 v20, vcc, v2, v16
	v_addc_co_u32_e32 v21, vcc, v3, v17, vcc
	v_add_co_u32_e32 v24, vcc, v4, v16
	v_addc_co_u32_e32 v25, vcc, v5, v17, vcc
	global_load_dwordx4 v[0:3], v[24:25], off
	global_load_dwordx4 v[4:7], v[20:21], off
	v_div_scale_f32 v9, s[0:1], v14, v14, v19
	v_div_scale_f32 v20, s[0:1], v14, v14, v18
	v_rcp_f32_e32 v21, v9
	v_rcp_f32_e32 v23, v20
	v_div_scale_f32 v15, vcc, v19, v14, v19
	v_fma_f32 v25, -v9, v21, 1.0
	v_fma_f32 v26, -v20, v23, 1.0
	v_fmac_f32_e32 v21, v25, v21
	v_div_scale_f32 v24, s[0:1], v18, v14, v18
	v_fmac_f32_e32 v23, v26, v23
	v_mul_f32_e32 v25, v15, v21
	v_mul_f32_e32 v26, v24, v23
	v_fma_f32 v27, -v9, v25, v15
	v_fma_f32 v28, -v20, v26, v24
	v_fmac_f32_e32 v25, v27, v21
	v_fmac_f32_e32 v26, v28, v23
	v_fma_f32 v9, -v9, v25, v15
	v_fma_f32 v15, -v20, v26, v24
	v_div_fmas_f32 v9, v9, v21, v25
	s_mov_b64 vcc, s[0:1]
	v_div_fixup_f32 v19, v9, v14, v19
	v_div_fmas_f32 v9, v15, v23, v26
	v_div_fixup_f32 v18, v9, v14, v18
	s_waitcnt vmcnt(1)
	v_lshlrev_b32_e32 v21, 16, v0
	s_waitcnt vmcnt(0)
	v_lshlrev_b32_e32 v20, 16, v4
	v_pk_mul_f32 v[24:25], v[18:19], v[20:21]
	v_mov_b32_e32 v24, v25
	v_pk_fma_f32 v[20:21], v[18:19], v[20:21], v[24:25]
	v_and_b32_e32 v9, 0x7f800000, v20
	v_cmp_ne_u32_e32 vcc, s3, v9
                                        ; implicit-def: $vgpr9
	s_and_saveexec_b64 s[0:1], vcc
	s_xor_b64 s[0:1], exec, s[0:1]
; %bb.11:
	v_bfe_u32 v9, v20, 16, 1
	s_movk_i32 s3, 0x7fff
	v_add3_u32 v9, v20, v9, s3
                                        ; implicit-def: $vgpr20_vgpr21
; %bb.12:
	s_andn2_saveexec_b64 s[0:1], s[0:1]
; %bb.13:
	v_mov_b32_e32 v9, 0
	v_or_b32_e32 v15, 0x10000, v20
	v_cmp_eq_u32_sdwa vcc, v20, v9 src0_sel:WORD_0 src1_sel:DWORD
	v_cndmask_b32_e32 v9, v15, v20, vcc
; %bb.14:
	s_or_b64 exec, exec, s[0:1]
	v_and_b32_e32 v0, 0xffff0000, v0
	v_and_b32_e32 v15, 0xffff0000, v4
	v_mul_f32_e32 v4, v19, v0
	v_fmac_f32_e32 v4, v18, v15
	s_mov_b32 s0, 0x7f800000
	v_and_b32_e32 v0, 0x7f800000, v4
	v_cmp_ne_u32_e32 vcc, s0, v0
                                        ; implicit-def: $vgpr0
	s_and_saveexec_b64 s[0:1], vcc
	s_xor_b64 s[0:1], exec, s[0:1]
; %bb.15:
	v_bfe_u32 v0, v4, 16, 1
	s_movk_i32 s3, 0x7fff
	v_add3_u32 v0, v4, v0, s3
                                        ; implicit-def: $vgpr4
; %bb.16:
	s_andn2_saveexec_b64 s[0:1], s[0:1]
; %bb.17:
	v_mov_b32_e32 v0, 0
	v_or_b32_e32 v15, 0x10000, v4
	v_cmp_eq_u32_sdwa vcc, v4, v0 src0_sel:WORD_0 src1_sel:DWORD
	v_cndmask_b32_e32 v0, v15, v4, vcc
; %bb.18:
	s_or_b64 exec, exec, s[0:1]
	v_lshlrev_b32_e32 v15, 16, v1
	v_lshlrev_b32_e32 v4, 16, v5
	v_mul_f32_e32 v15, v19, v15
	v_fmac_f32_e32 v15, v18, v4
	s_mov_b32 s0, 0x7f800000
	v_and_b32_e32 v4, 0x7f800000, v15
	v_cmp_ne_u32_e32 vcc, s0, v4
                                        ; implicit-def: $vgpr4
	s_and_saveexec_b64 s[0:1], vcc
	s_xor_b64 s[0:1], exec, s[0:1]
; %bb.19:
	v_bfe_u32 v4, v15, 16, 1
	s_movk_i32 s3, 0x7fff
	v_add3_u32 v4, v15, v4, s3
                                        ; implicit-def: $vgpr15
; %bb.20:
	s_andn2_saveexec_b64 s[0:1], s[0:1]
; %bb.21:
	v_mov_b32_e32 v4, 0
	v_or_b32_e32 v20, 0x10000, v15
	v_cmp_eq_u32_sdwa vcc, v15, v4 src0_sel:WORD_0 src1_sel:DWORD
	v_cndmask_b32_e32 v4, v20, v15, vcc
; %bb.22:
	s_or_b64 exec, exec, s[0:1]
	v_and_b32_e32 v1, 0xffff0000, v1
	v_and_b32_e32 v15, 0xffff0000, v5
	v_mul_f32_e32 v5, v19, v1
	v_fmac_f32_e32 v5, v18, v15
	s_mov_b32 s0, 0x7f800000
	v_and_b32_e32 v1, 0x7f800000, v5
	v_cmp_ne_u32_e32 vcc, s0, v1
                                        ; implicit-def: $vgpr1
	s_and_saveexec_b64 s[0:1], vcc
	s_xor_b64 s[0:1], exec, s[0:1]
; %bb.23:
	v_bfe_u32 v1, v5, 16, 1
	s_movk_i32 s3, 0x7fff
	v_add3_u32 v1, v5, v1, s3
                                        ; implicit-def: $vgpr5
; %bb.24:
	s_andn2_saveexec_b64 s[0:1], s[0:1]
; %bb.25:
	v_mov_b32_e32 v1, 0
	v_or_b32_e32 v15, 0x10000, v5
	v_cmp_eq_u32_sdwa vcc, v5, v1 src0_sel:WORD_0 src1_sel:DWORD
	v_cndmask_b32_e32 v1, v15, v5, vcc
; %bb.26:
	s_or_b64 exec, exec, s[0:1]
	v_lshlrev_b32_e32 v15, 16, v2
	v_lshlrev_b32_e32 v5, 16, v6
	v_mul_f32_e32 v15, v19, v15
	v_fmac_f32_e32 v15, v18, v5
	s_mov_b32 s0, 0x7f800000
	v_and_b32_e32 v5, 0x7f800000, v15
	v_cmp_ne_u32_e32 vcc, s0, v5
                                        ; implicit-def: $vgpr5
	s_and_saveexec_b64 s[0:1], vcc
	s_xor_b64 s[0:1], exec, s[0:1]
; %bb.27:
	v_bfe_u32 v5, v15, 16, 1
	s_movk_i32 s3, 0x7fff
	v_add3_u32 v5, v15, v5, s3
                                        ; implicit-def: $vgpr15
; %bb.28:
	s_andn2_saveexec_b64 s[0:1], s[0:1]
; %bb.29:
	v_mov_b32_e32 v5, 0
	v_or_b32_e32 v20, 0x10000, v15
	v_cmp_eq_u32_sdwa vcc, v15, v5 src0_sel:WORD_0 src1_sel:DWORD
	v_cndmask_b32_e32 v5, v20, v15, vcc
; %bb.30:
	s_or_b64 exec, exec, s[0:1]
	v_and_b32_e32 v2, 0xffff0000, v2
	v_and_b32_e32 v15, 0xffff0000, v6
	v_mul_f32_e32 v6, v19, v2
	v_fmac_f32_e32 v6, v18, v15
	s_mov_b32 s0, 0x7f800000
	v_and_b32_e32 v2, 0x7f800000, v6
	v_cmp_ne_u32_e32 vcc, s0, v2
                                        ; implicit-def: $vgpr2
	s_and_saveexec_b64 s[0:1], vcc
	s_xor_b64 s[0:1], exec, s[0:1]
; %bb.31:
	v_bfe_u32 v2, v6, 16, 1
	s_movk_i32 s3, 0x7fff
	v_add3_u32 v2, v6, v2, s3
                                        ; implicit-def: $vgpr6
; %bb.32:
	s_andn2_saveexec_b64 s[0:1], s[0:1]
; %bb.33:
	v_mov_b32_e32 v2, 0
	v_or_b32_e32 v15, 0x10000, v6
	v_cmp_eq_u32_sdwa vcc, v6, v2 src0_sel:WORD_0 src1_sel:DWORD
	v_cndmask_b32_e32 v2, v15, v6, vcc
; %bb.34:
	s_or_b64 exec, exec, s[0:1]
	v_lshlrev_b32_e32 v15, 16, v3
	v_lshlrev_b32_e32 v6, 16, v7
	v_mul_f32_e32 v15, v19, v15
	v_fmac_f32_e32 v15, v18, v6
	s_mov_b32 s0, 0x7f800000
	v_and_b32_e32 v6, 0x7f800000, v15
	v_cmp_ne_u32_e32 vcc, s0, v6
                                        ; implicit-def: $vgpr6
	s_and_saveexec_b64 s[0:1], vcc
	s_xor_b64 s[0:1], exec, s[0:1]
; %bb.35:
	v_bfe_u32 v6, v15, 16, 1
	s_movk_i32 s3, 0x7fff
	v_add3_u32 v6, v15, v6, s3
                                        ; implicit-def: $vgpr15
; %bb.36:
	s_andn2_saveexec_b64 s[0:1], s[0:1]
; %bb.37:
	v_mov_b32_e32 v6, 0
	v_or_b32_e32 v20, 0x10000, v15
	v_cmp_eq_u32_sdwa vcc, v15, v6 src0_sel:WORD_0 src1_sel:DWORD
	v_cndmask_b32_e32 v6, v20, v15, vcc
; %bb.38:
	s_or_b64 exec, exec, s[0:1]
	v_and_b32_e32 v3, 0xffff0000, v3
	v_and_b32_e32 v7, 0xffff0000, v7
	v_mul_f32_e32 v3, v19, v3
	v_fmac_f32_e32 v3, v18, v7
	s_mov_b32 s0, 0x7f800000
	v_and_b32_e32 v7, 0x7f800000, v3
	v_cmp_ne_u32_e32 vcc, s0, v7
                                        ; implicit-def: $vgpr7
	s_and_saveexec_b64 s[0:1], vcc
	s_xor_b64 s[0:1], exec, s[0:1]
; %bb.39:
	v_bfe_u32 v7, v3, 16, 1
	s_movk_i32 s3, 0x7fff
	v_add3_u32 v7, v3, v7, s3
                                        ; implicit-def: $vgpr3
; %bb.40:
	s_andn2_saveexec_b64 s[0:1], s[0:1]
; %bb.41:
	v_mov_b32_e32 v7, 0
	v_or_b32_e32 v15, 0x10000, v3
	v_cmp_eq_u32_sdwa vcc, v3, v7 src0_sel:WORD_0 src1_sel:DWORD
	v_cndmask_b32_e32 v7, v15, v3, vcc
; %bb.42:
	s_or_b64 exec, exec, s[0:1]
	v_add_co_u32_e32 v16, vcc, v13, v16
	s_mov_b32 s0, 0x7060302
	v_addc_co_u32_e32 v17, vcc, v22, v17, vcc
	v_perm_b32 v3, v7, v6, s0
	v_perm_b32 v2, v2, v5, s0
	;; [unrolled: 1-line block ×4, first 2 shown]
	global_store_dwordx4 v[16:17], v[0:3], off
.LBB8_43:
	s_or_b64 exec, exec, s[6:7]
	s_cmp_lg_u64 s[10:11], 0
	s_cselect_b64 s[0:1], -1, 0
	v_cmp_eq_u32_e32 vcc, 0, v8
	s_and_b64 s[0:1], s[0:1], vcc
	s_and_saveexec_b64 s[6:7], s[0:1]
	s_cbranch_execz .LBB8_45
; %bb.44:
	s_mov_b32 s0, 0x800000
	v_mov_b32_e32 v0, 0x4f800000
	v_cmp_gt_f32_e32 vcc, s0, v14
	v_cndmask_b32_e32 v0, 1.0, v0, vcc
	v_mul_f32_e32 v0, v14, v0
	v_log_f32_e32 v2, v0
	v_mov_b32_e32 v1, s11
	v_add_co_u32_e64 v0, s[0:1], s10, v10
	v_addc_co_u32_e64 v1, s[0:1], v1, v11, s[0:1]
	s_mov_b32 s0, 0x3f317217
	v_mul_f32_e32 v3, 0x3f317217, v2
	v_fma_f32 v4, v2, s0, -v3
	v_fmac_f32_e32 v4, 0x3377d1cf, v2
	s_mov_b32 s0, 0x7f800000
	v_add_f32_e32 v3, v3, v4
	v_cmp_lt_f32_e64 s[0:1], |v2|, s0
	v_cndmask_b32_e64 v2, v2, v3, s[0:1]
	v_mov_b32_e32 v3, 0x41b17218
	v_cndmask_b32_e32 v3, 0, v3, vcc
	v_sub_f32_e32 v2, v2, v3
	v_add_f32_e32 v2, v12, v2
	global_store_dword v[0:1], v2, off
.LBB8_45:
	s_or_b64 exec, exec, s[6:7]
                                        ; implicit-def: $vgpr8
                                        ; implicit-def: $vgpr10_vgpr11
                                        ; implicit-def: $vgpr12
                                        ; implicit-def: $vgpr6
                                        ; implicit-def: $vgpr13
                                        ; implicit-def: $vgpr22
                                        ; implicit-def: $vgpr2
                                        ; implicit-def: $vgpr3
.LBB8_46:
	s_andn2_saveexec_b64 s[0:1], s[4:5]
	s_cbranch_execz .LBB8_51
; %bb.47:
	v_cmp_gt_u32_e32 vcc, s2, v6
	s_and_saveexec_b64 s[0:1], vcc
	s_cbranch_execz .LBB8_49
; %bb.48:
	v_mov_b32_e32 v9, 0
	v_lshlrev_b64 v[4:5], 4, v[8:9]
	v_add_co_u32_e32 v0, vcc, v2, v4
	v_addc_co_u32_e32 v1, vcc, v3, v5, vcc
	global_load_dwordx4 v[0:3], v[0:1], off
	v_add_co_u32_e32 v4, vcc, v13, v4
	v_addc_co_u32_e32 v5, vcc, v22, v5, vcc
	s_waitcnt vmcnt(0)
	global_store_dwordx4 v[4:5], v[0:3], off
.LBB8_49:
	s_or_b64 exec, exec, s[0:1]
	s_cmp_lg_u64 s[10:11], 0
	s_cselect_b64 s[0:1], -1, 0
	v_cmp_eq_u32_e32 vcc, 0, v8
	s_and_b64 s[0:1], s[0:1], vcc
	s_and_saveexec_b64 s[2:3], s[0:1]
	s_cbranch_execz .LBB8_51
; %bb.50:
	v_mov_b32_e32 v1, s11
	v_add_co_u32_e32 v0, vcc, s10, v10
	v_addc_co_u32_e32 v1, vcc, v1, v11, vcc
	global_store_dword v[0:1], v12, off
.LBB8_51:
	s_endpgm
	.section	.rodata,"a",@progbits
	.p2align	6, 0x0
	.amdhsa_kernel _ZN4vllm24merge_attn_states_kernelI14__hip_bfloat16S1_Lj128ELb0EEEvPT0_PfPKT_PKfS7_S9_jjjjjjS9_
		.amdhsa_group_segment_fixed_size 0
		.amdhsa_private_segment_fixed_size 0
		.amdhsa_kernarg_size 80
		.amdhsa_user_sgpr_count 6
		.amdhsa_user_sgpr_private_segment_buffer 1
		.amdhsa_user_sgpr_dispatch_ptr 0
		.amdhsa_user_sgpr_queue_ptr 0
		.amdhsa_user_sgpr_kernarg_segment_ptr 1
		.amdhsa_user_sgpr_dispatch_id 0
		.amdhsa_user_sgpr_flat_scratch_init 0
		.amdhsa_user_sgpr_kernarg_preload_length 0
		.amdhsa_user_sgpr_kernarg_preload_offset 0
		.amdhsa_user_sgpr_private_segment_size 0
		.amdhsa_uses_dynamic_stack 0
		.amdhsa_system_sgpr_private_segment_wavefront_offset 0
		.amdhsa_system_sgpr_workgroup_id_x 1
		.amdhsa_system_sgpr_workgroup_id_y 0
		.amdhsa_system_sgpr_workgroup_id_z 0
		.amdhsa_system_sgpr_workgroup_info 0
		.amdhsa_system_vgpr_workitem_id 0
		.amdhsa_next_free_vgpr 29
		.amdhsa_next_free_sgpr 22
		.amdhsa_accum_offset 32
		.amdhsa_reserve_vcc 1
		.amdhsa_reserve_flat_scratch 0
		.amdhsa_float_round_mode_32 0
		.amdhsa_float_round_mode_16_64 0
		.amdhsa_float_denorm_mode_32 3
		.amdhsa_float_denorm_mode_16_64 3
		.amdhsa_dx10_clamp 1
		.amdhsa_ieee_mode 1
		.amdhsa_fp16_overflow 0
		.amdhsa_tg_split 0
		.amdhsa_exception_fp_ieee_invalid_op 0
		.amdhsa_exception_fp_denorm_src 0
		.amdhsa_exception_fp_ieee_div_zero 0
		.amdhsa_exception_fp_ieee_overflow 0
		.amdhsa_exception_fp_ieee_underflow 0
		.amdhsa_exception_fp_ieee_inexact 0
		.amdhsa_exception_int_div_zero 0
	.end_amdhsa_kernel
	.section	.text._ZN4vllm24merge_attn_states_kernelI14__hip_bfloat16S1_Lj128ELb0EEEvPT0_PfPKT_PKfS7_S9_jjjjjjS9_,"axG",@progbits,_ZN4vllm24merge_attn_states_kernelI14__hip_bfloat16S1_Lj128ELb0EEEvPT0_PfPKT_PKfS7_S9_jjjjjjS9_,comdat
.Lfunc_end8:
	.size	_ZN4vllm24merge_attn_states_kernelI14__hip_bfloat16S1_Lj128ELb0EEEvPT0_PfPKT_PKfS7_S9_jjjjjjS9_, .Lfunc_end8-_ZN4vllm24merge_attn_states_kernelI14__hip_bfloat16S1_Lj128ELb0EEEvPT0_PfPKT_PKfS7_S9_jjjjjjS9_
                                        ; -- End function
	.section	.AMDGPU.csdata,"",@progbits
; Kernel info:
; codeLenInByte = 2240
; NumSgprs: 26
; NumVgprs: 29
; NumAgprs: 0
; TotalNumVgprs: 29
; ScratchSize: 0
; MemoryBound: 1
; FloatMode: 240
; IeeeMode: 1
; LDSByteSize: 0 bytes/workgroup (compile time only)
; SGPRBlocks: 3
; VGPRBlocks: 3
; NumSGPRsForWavesPerEU: 26
; NumVGPRsForWavesPerEU: 29
; AccumOffset: 32
; Occupancy: 8
; WaveLimiterHint : 0
; COMPUTE_PGM_RSRC2:SCRATCH_EN: 0
; COMPUTE_PGM_RSRC2:USER_SGPR: 6
; COMPUTE_PGM_RSRC2:TRAP_HANDLER: 0
; COMPUTE_PGM_RSRC2:TGID_X_EN: 1
; COMPUTE_PGM_RSRC2:TGID_Y_EN: 0
; COMPUTE_PGM_RSRC2:TGID_Z_EN: 0
; COMPUTE_PGM_RSRC2:TIDIG_COMP_CNT: 0
; COMPUTE_PGM_RSRC3_GFX90A:ACCUM_OFFSET: 7
; COMPUTE_PGM_RSRC3_GFX90A:TG_SPLIT: 0
	.text
	.p2alignl 6, 3212836864
	.fill 256, 4, 3212836864
	.type	__hip_cuid_d734552a299c8351,@object ; @__hip_cuid_d734552a299c8351
	.section	.bss,"aw",@nobits
	.globl	__hip_cuid_d734552a299c8351
__hip_cuid_d734552a299c8351:
	.byte	0                               ; 0x0
	.size	__hip_cuid_d734552a299c8351, 1

	.ident	"AMD clang version 19.0.0git (https://github.com/RadeonOpenCompute/llvm-project roc-6.4.0 25133 c7fe45cf4b819c5991fe208aaa96edf142730f1d)"
	.section	".note.GNU-stack","",@progbits
	.addrsig
	.addrsig_sym __hip_cuid_d734552a299c8351
	.amdgpu_metadata
---
amdhsa.kernels:
  - .agpr_count:     0
    .args:
      - .address_space:  global
        .offset:         0
        .size:           8
        .value_kind:     global_buffer
      - .address_space:  global
        .offset:         8
        .size:           8
        .value_kind:     global_buffer
      - .address_space:  global
        .offset:         16
        .size:           8
        .value_kind:     global_buffer
      - .address_space:  global
        .offset:         24
        .size:           8
        .value_kind:     global_buffer
      - .address_space:  global
        .offset:         32
        .size:           8
        .value_kind:     global_buffer
      - .address_space:  global
        .offset:         40
        .size:           8
        .value_kind:     global_buffer
      - .offset:         48
        .size:           4
        .value_kind:     by_value
      - .offset:         52
        .size:           4
        .value_kind:     by_value
      - .offset:         56
        .size:           4
        .value_kind:     by_value
      - .offset:         60
        .size:           4
        .value_kind:     by_value
      - .offset:         64
        .size:           4
        .value_kind:     by_value
      - .offset:         68
        .size:           4
        .value_kind:     by_value
      - .address_space:  global
        .offset:         72
        .size:           8
        .value_kind:     global_buffer
    .group_segment_fixed_size: 0
    .kernarg_segment_align: 8
    .kernarg_segment_size: 80
    .language:       OpenCL C
    .language_version:
      - 2
      - 0
    .max_flat_workgroup_size: 1024
    .name:           _ZN4vllm24merge_attn_states_kernelIfN3c1013Float8_e4m3fnELj128ELb1EEEvPT0_PfPKT_PKfS8_SA_jjjjjjSA_
    .private_segment_fixed_size: 0
    .sgpr_count:     30
    .sgpr_spill_count: 0
    .symbol:         _ZN4vllm24merge_attn_states_kernelIfN3c1013Float8_e4m3fnELj128ELb1EEEvPT0_PfPKT_PKfS8_SA_jjjjjjSA_.kd
    .uniform_work_group_size: 1
    .uses_dynamic_stack: false
    .vgpr_count:     31
    .vgpr_spill_count: 0
    .wavefront_size: 64
  - .agpr_count:     0
    .args:
      - .address_space:  global
        .offset:         0
        .size:           8
        .value_kind:     global_buffer
      - .address_space:  global
        .offset:         8
        .size:           8
        .value_kind:     global_buffer
      - .address_space:  global
        .offset:         16
        .size:           8
        .value_kind:     global_buffer
      - .address_space:  global
        .offset:         24
        .size:           8
        .value_kind:     global_buffer
      - .address_space:  global
        .offset:         32
        .size:           8
        .value_kind:     global_buffer
      - .address_space:  global
        .offset:         40
        .size:           8
        .value_kind:     global_buffer
      - .offset:         48
        .size:           4
        .value_kind:     by_value
      - .offset:         52
        .size:           4
        .value_kind:     by_value
      - .offset:         56
        .size:           4
        .value_kind:     by_value
      - .offset:         60
        .size:           4
        .value_kind:     by_value
      - .offset:         64
        .size:           4
        .value_kind:     by_value
      - .offset:         68
        .size:           4
        .value_kind:     by_value
      - .address_space:  global
        .offset:         72
        .size:           8
        .value_kind:     global_buffer
    .group_segment_fixed_size: 0
    .kernarg_segment_align: 8
    .kernarg_segment_size: 80
    .language:       OpenCL C
    .language_version:
      - 2
      - 0
    .max_flat_workgroup_size: 1024
    .name:           _ZN4vllm24merge_attn_states_kernelIfN3c1015Float8_e4m3fnuzELj128ELb1EEEvPT0_PfPKT_PKfS8_SA_jjjjjjSA_
    .private_segment_fixed_size: 0
    .sgpr_count:     30
    .sgpr_spill_count: 0
    .symbol:         _ZN4vllm24merge_attn_states_kernelIfN3c1015Float8_e4m3fnuzELj128ELb1EEEvPT0_PfPKT_PKfS8_SA_jjjjjjSA_.kd
    .uniform_work_group_size: 1
    .uses_dynamic_stack: false
    .vgpr_count:     31
    .vgpr_spill_count: 0
    .wavefront_size: 64
  - .agpr_count:     0
    .args:
      - .address_space:  global
        .offset:         0
        .size:           8
        .value_kind:     global_buffer
      - .address_space:  global
        .offset:         8
        .size:           8
        .value_kind:     global_buffer
      - .address_space:  global
        .offset:         16
        .size:           8
        .value_kind:     global_buffer
      - .address_space:  global
        .offset:         24
        .size:           8
        .value_kind:     global_buffer
      - .address_space:  global
        .offset:         32
        .size:           8
        .value_kind:     global_buffer
      - .address_space:  global
        .offset:         40
        .size:           8
        .value_kind:     global_buffer
      - .offset:         48
        .size:           4
        .value_kind:     by_value
      - .offset:         52
        .size:           4
        .value_kind:     by_value
      - .offset:         56
        .size:           4
        .value_kind:     by_value
      - .offset:         60
        .size:           4
        .value_kind:     by_value
      - .offset:         64
        .size:           4
        .value_kind:     by_value
      - .offset:         68
        .size:           4
        .value_kind:     by_value
      - .address_space:  global
        .offset:         72
        .size:           8
        .value_kind:     global_buffer
    .group_segment_fixed_size: 0
    .kernarg_segment_align: 8
    .kernarg_segment_size: 80
    .language:       OpenCL C
    .language_version:
      - 2
      - 0
    .max_flat_workgroup_size: 1024
    .name:           _ZN4vllm24merge_attn_states_kernelIffLj128ELb0EEEvPT0_PfPKT_PKfS6_S8_jjjjjjS8_
    .private_segment_fixed_size: 0
    .sgpr_count:     26
    .sgpr_spill_count: 0
    .symbol:         _ZN4vllm24merge_attn_states_kernelIffLj128ELb0EEEvPT0_PfPKT_PKfS6_S8_jjjjjjS8_.kd
    .uniform_work_group_size: 1
    .uses_dynamic_stack: false
    .vgpr_count:     27
    .vgpr_spill_count: 0
    .wavefront_size: 64
  - .agpr_count:     0
    .args:
      - .address_space:  global
        .offset:         0
        .size:           8
        .value_kind:     global_buffer
      - .address_space:  global
        .offset:         8
        .size:           8
        .value_kind:     global_buffer
      - .address_space:  global
        .offset:         16
        .size:           8
        .value_kind:     global_buffer
      - .address_space:  global
        .offset:         24
        .size:           8
        .value_kind:     global_buffer
      - .address_space:  global
        .offset:         32
        .size:           8
        .value_kind:     global_buffer
      - .address_space:  global
        .offset:         40
        .size:           8
        .value_kind:     global_buffer
      - .offset:         48
        .size:           4
        .value_kind:     by_value
      - .offset:         52
        .size:           4
        .value_kind:     by_value
      - .offset:         56
        .size:           4
        .value_kind:     by_value
      - .offset:         60
        .size:           4
        .value_kind:     by_value
      - .offset:         64
        .size:           4
        .value_kind:     by_value
      - .offset:         68
        .size:           4
        .value_kind:     by_value
      - .address_space:  global
        .offset:         72
        .size:           8
        .value_kind:     global_buffer
    .group_segment_fixed_size: 0
    .kernarg_segment_align: 8
    .kernarg_segment_size: 80
    .language:       OpenCL C
    .language_version:
      - 2
      - 0
    .max_flat_workgroup_size: 1024
    .name:           _ZN4vllm24merge_attn_states_kernelItN3c1013Float8_e4m3fnELj128ELb1EEEvPT0_PfPKT_PKfS8_SA_jjjjjjSA_
    .private_segment_fixed_size: 0
    .sgpr_count:     30
    .sgpr_spill_count: 0
    .symbol:         _ZN4vllm24merge_attn_states_kernelItN3c1013Float8_e4m3fnELj128ELb1EEEvPT0_PfPKT_PKfS8_SA_jjjjjjSA_.kd
    .uniform_work_group_size: 1
    .uses_dynamic_stack: false
    .vgpr_count:     35
    .vgpr_spill_count: 0
    .wavefront_size: 64
  - .agpr_count:     0
    .args:
      - .address_space:  global
        .offset:         0
        .size:           8
        .value_kind:     global_buffer
      - .address_space:  global
        .offset:         8
        .size:           8
        .value_kind:     global_buffer
      - .address_space:  global
        .offset:         16
        .size:           8
        .value_kind:     global_buffer
      - .address_space:  global
        .offset:         24
        .size:           8
        .value_kind:     global_buffer
      - .address_space:  global
        .offset:         32
        .size:           8
        .value_kind:     global_buffer
      - .address_space:  global
        .offset:         40
        .size:           8
        .value_kind:     global_buffer
      - .offset:         48
        .size:           4
        .value_kind:     by_value
      - .offset:         52
        .size:           4
        .value_kind:     by_value
      - .offset:         56
        .size:           4
        .value_kind:     by_value
      - .offset:         60
        .size:           4
        .value_kind:     by_value
      - .offset:         64
        .size:           4
        .value_kind:     by_value
      - .offset:         68
        .size:           4
        .value_kind:     by_value
      - .address_space:  global
        .offset:         72
        .size:           8
        .value_kind:     global_buffer
    .group_segment_fixed_size: 0
    .kernarg_segment_align: 8
    .kernarg_segment_size: 80
    .language:       OpenCL C
    .language_version:
      - 2
      - 0
    .max_flat_workgroup_size: 1024
    .name:           _ZN4vllm24merge_attn_states_kernelItN3c1015Float8_e4m3fnuzELj128ELb1EEEvPT0_PfPKT_PKfS8_SA_jjjjjjSA_
    .private_segment_fixed_size: 0
    .sgpr_count:     28
    .sgpr_spill_count: 0
    .symbol:         _ZN4vllm24merge_attn_states_kernelItN3c1015Float8_e4m3fnuzELj128ELb1EEEvPT0_PfPKT_PKfS8_SA_jjjjjjSA_.kd
    .uniform_work_group_size: 1
    .uses_dynamic_stack: false
    .vgpr_count:     34
    .vgpr_spill_count: 0
    .wavefront_size: 64
  - .agpr_count:     0
    .args:
      - .address_space:  global
        .offset:         0
        .size:           8
        .value_kind:     global_buffer
      - .address_space:  global
        .offset:         8
        .size:           8
        .value_kind:     global_buffer
      - .address_space:  global
        .offset:         16
        .size:           8
        .value_kind:     global_buffer
      - .address_space:  global
        .offset:         24
        .size:           8
        .value_kind:     global_buffer
      - .address_space:  global
        .offset:         32
        .size:           8
        .value_kind:     global_buffer
      - .address_space:  global
        .offset:         40
        .size:           8
        .value_kind:     global_buffer
      - .offset:         48
        .size:           4
        .value_kind:     by_value
      - .offset:         52
        .size:           4
        .value_kind:     by_value
      - .offset:         56
        .size:           4
        .value_kind:     by_value
      - .offset:         60
        .size:           4
        .value_kind:     by_value
      - .offset:         64
        .size:           4
        .value_kind:     by_value
      - .offset:         68
        .size:           4
        .value_kind:     by_value
      - .address_space:  global
        .offset:         72
        .size:           8
        .value_kind:     global_buffer
    .group_segment_fixed_size: 0
    .kernarg_segment_align: 8
    .kernarg_segment_size: 80
    .language:       OpenCL C
    .language_version:
      - 2
      - 0
    .max_flat_workgroup_size: 1024
    .name:           _ZN4vllm24merge_attn_states_kernelIttLj128ELb0EEEvPT0_PfPKT_PKfS6_S8_jjjjjjS8_
    .private_segment_fixed_size: 0
    .sgpr_count:     26
    .sgpr_spill_count: 0
    .symbol:         _ZN4vllm24merge_attn_states_kernelIttLj128ELb0EEEvPT0_PfPKT_PKfS6_S8_jjjjjjS8_.kd
    .uniform_work_group_size: 1
    .uses_dynamic_stack: false
    .vgpr_count:     29
    .vgpr_spill_count: 0
    .wavefront_size: 64
  - .agpr_count:     0
    .args:
      - .address_space:  global
        .offset:         0
        .size:           8
        .value_kind:     global_buffer
      - .address_space:  global
        .offset:         8
        .size:           8
        .value_kind:     global_buffer
      - .address_space:  global
        .offset:         16
        .size:           8
        .value_kind:     global_buffer
      - .address_space:  global
        .offset:         24
        .size:           8
        .value_kind:     global_buffer
      - .address_space:  global
        .offset:         32
        .size:           8
        .value_kind:     global_buffer
      - .address_space:  global
        .offset:         40
        .size:           8
        .value_kind:     global_buffer
      - .offset:         48
        .size:           4
        .value_kind:     by_value
      - .offset:         52
        .size:           4
        .value_kind:     by_value
      - .offset:         56
        .size:           4
        .value_kind:     by_value
      - .offset:         60
        .size:           4
        .value_kind:     by_value
      - .offset:         64
        .size:           4
        .value_kind:     by_value
      - .offset:         68
        .size:           4
        .value_kind:     by_value
      - .address_space:  global
        .offset:         72
        .size:           8
        .value_kind:     global_buffer
    .group_segment_fixed_size: 0
    .kernarg_segment_align: 8
    .kernarg_segment_size: 80
    .language:       OpenCL C
    .language_version:
      - 2
      - 0
    .max_flat_workgroup_size: 1024
    .name:           _ZN4vllm24merge_attn_states_kernelI14__hip_bfloat16N3c1013Float8_e4m3fnELj128ELb1EEEvPT0_PfPKT_PKfS9_SB_jjjjjjSB_
    .private_segment_fixed_size: 0
    .sgpr_count:     30
    .sgpr_spill_count: 0
    .symbol:         _ZN4vllm24merge_attn_states_kernelI14__hip_bfloat16N3c1013Float8_e4m3fnELj128ELb1EEEvPT0_PfPKT_PKfS9_SB_jjjjjjSB_.kd
    .uniform_work_group_size: 1
    .uses_dynamic_stack: false
    .vgpr_count:     36
    .vgpr_spill_count: 0
    .wavefront_size: 64
  - .agpr_count:     0
    .args:
      - .address_space:  global
        .offset:         0
        .size:           8
        .value_kind:     global_buffer
      - .address_space:  global
        .offset:         8
        .size:           8
        .value_kind:     global_buffer
      - .address_space:  global
        .offset:         16
        .size:           8
        .value_kind:     global_buffer
      - .address_space:  global
        .offset:         24
        .size:           8
        .value_kind:     global_buffer
      - .address_space:  global
        .offset:         32
        .size:           8
        .value_kind:     global_buffer
      - .address_space:  global
        .offset:         40
        .size:           8
        .value_kind:     global_buffer
      - .offset:         48
        .size:           4
        .value_kind:     by_value
      - .offset:         52
        .size:           4
        .value_kind:     by_value
      - .offset:         56
        .size:           4
        .value_kind:     by_value
      - .offset:         60
        .size:           4
        .value_kind:     by_value
      - .offset:         64
        .size:           4
        .value_kind:     by_value
      - .offset:         68
        .size:           4
        .value_kind:     by_value
      - .address_space:  global
        .offset:         72
        .size:           8
        .value_kind:     global_buffer
    .group_segment_fixed_size: 0
    .kernarg_segment_align: 8
    .kernarg_segment_size: 80
    .language:       OpenCL C
    .language_version:
      - 2
      - 0
    .max_flat_workgroup_size: 1024
    .name:           _ZN4vllm24merge_attn_states_kernelI14__hip_bfloat16N3c1015Float8_e4m3fnuzELj128ELb1EEEvPT0_PfPKT_PKfS9_SB_jjjjjjSB_
    .private_segment_fixed_size: 0
    .sgpr_count:     28
    .sgpr_spill_count: 0
    .symbol:         _ZN4vllm24merge_attn_states_kernelI14__hip_bfloat16N3c1015Float8_e4m3fnuzELj128ELb1EEEvPT0_PfPKT_PKfS9_SB_jjjjjjSB_.kd
    .uniform_work_group_size: 1
    .uses_dynamic_stack: false
    .vgpr_count:     36
    .vgpr_spill_count: 0
    .wavefront_size: 64
  - .agpr_count:     0
    .args:
      - .address_space:  global
        .offset:         0
        .size:           8
        .value_kind:     global_buffer
      - .address_space:  global
        .offset:         8
        .size:           8
        .value_kind:     global_buffer
      - .address_space:  global
        .offset:         16
        .size:           8
        .value_kind:     global_buffer
      - .address_space:  global
        .offset:         24
        .size:           8
        .value_kind:     global_buffer
      - .address_space:  global
        .offset:         32
        .size:           8
        .value_kind:     global_buffer
      - .address_space:  global
        .offset:         40
        .size:           8
        .value_kind:     global_buffer
      - .offset:         48
        .size:           4
        .value_kind:     by_value
      - .offset:         52
        .size:           4
        .value_kind:     by_value
      - .offset:         56
        .size:           4
        .value_kind:     by_value
      - .offset:         60
        .size:           4
        .value_kind:     by_value
      - .offset:         64
        .size:           4
        .value_kind:     by_value
      - .offset:         68
        .size:           4
        .value_kind:     by_value
      - .address_space:  global
        .offset:         72
        .size:           8
        .value_kind:     global_buffer
    .group_segment_fixed_size: 0
    .kernarg_segment_align: 8
    .kernarg_segment_size: 80
    .language:       OpenCL C
    .language_version:
      - 2
      - 0
    .max_flat_workgroup_size: 1024
    .name:           _ZN4vllm24merge_attn_states_kernelI14__hip_bfloat16S1_Lj128ELb0EEEvPT0_PfPKT_PKfS7_S9_jjjjjjS9_
    .private_segment_fixed_size: 0
    .sgpr_count:     26
    .sgpr_spill_count: 0
    .symbol:         _ZN4vllm24merge_attn_states_kernelI14__hip_bfloat16S1_Lj128ELb0EEEvPT0_PfPKT_PKfS7_S9_jjjjjjS9_.kd
    .uniform_work_group_size: 1
    .uses_dynamic_stack: false
    .vgpr_count:     29
    .vgpr_spill_count: 0
    .wavefront_size: 64
amdhsa.target:   amdgcn-amd-amdhsa--gfx90a
amdhsa.version:
  - 1
  - 2
...

	.end_amdgpu_metadata
